;; amdgpu-corpus repo=ROCm/rocFFT kind=compiled arch=gfx950 opt=O3
	.text
	.amdgcn_target "amdgcn-amd-amdhsa--gfx950"
	.amdhsa_code_object_version 6
	.protected	bluestein_single_fwd_len714_dim1_sp_op_CI_CI ; -- Begin function bluestein_single_fwd_len714_dim1_sp_op_CI_CI
	.globl	bluestein_single_fwd_len714_dim1_sp_op_CI_CI
	.p2align	8
	.type	bluestein_single_fwd_len714_dim1_sp_op_CI_CI,@function
bluestein_single_fwd_len714_dim1_sp_op_CI_CI: ; @bluestein_single_fwd_len714_dim1_sp_op_CI_CI
; %bb.0:
	s_load_dwordx4 s[8:11], s[0:1], 0x28
	v_mul_u32_u24_e32 v1, 0x506, v0
	v_mov_b32_e32 v107, 0
	v_add_u32_sdwa v96, s2, v1 dst_sel:DWORD dst_unused:UNUSED_PAD src0_sel:DWORD src1_sel:WORD_1
	v_mov_b32_e32 v97, v107
	s_waitcnt lgkmcnt(0)
	v_cmp_gt_u64_e32 vcc, s[8:9], v[96:97]
	s_and_saveexec_b64 s[2:3], vcc
	s_cbranch_execz .LBB0_23
; %bb.1:
	s_load_dwordx4 s[4:7], s[0:1], 0x18
	s_load_dwordx2 s[14:15], s[0:1], 0x0
	v_mov_b32_e32 v2, s10
	v_mov_b32_e32 v3, s11
	;; [unrolled: 1-line block ×3, first 2 shown]
	s_waitcnt lgkmcnt(0)
	s_load_dwordx4 s[8:11], s[4:5], 0x0
	v_mul_lo_u16_sdwa v1, v1, v4 dst_sel:DWORD dst_unused:UNUSED_PAD src0_sel:WORD_1 src1_sel:DWORD
	v_sub_u16_e32 v106, v0, v1
	v_lshlrev_b32_e32 v82, 3, v106
	global_load_dwordx2 v[248:249], v82, s[14:15]
	global_load_dwordx2 v[246:247], v82, s[14:15] offset:1904
	s_waitcnt lgkmcnt(0)
	v_mad_u64_u32 v[0:1], s[2:3], s10, v96, 0
	v_mov_b32_e32 v4, v1
	v_mad_u64_u32 v[4:5], s[2:3], s11, v96, v[4:5]
	v_mov_b32_e32 v1, v4
	;; [unrolled: 2-line block ×3, first 2 shown]
	v_mad_u64_u32 v[6:7], s[2:3], s9, v106, v[6:7]
	s_mul_i32 s2, s9, 0xee
	s_mul_hi_u32 s3, s8, 0xee
	v_mov_b32_e32 v5, v6
	v_lshl_add_u64 v[0:1], v[0:1], 3, v[2:3]
	s_add_i32 s3, s3, s2
	s_mul_i32 s2, s8, 0xee
	s_mul_hi_u32 s5, s8, 0xfffffe57
	v_lshl_add_u64 v[0:1], v[4:5], 3, v[0:1]
	s_lshl_b64 s[2:3], s[2:3], 3
	s_mul_i32 s4, s9, 0xfffffe57
	s_sub_i32 s5, s5, s8
	v_lshl_add_u64 v[2:3], v[0:1], 0, s[2:3]
	s_add_i32 s5, s5, s4
	s_mul_i32 s4, s8, 0xfffffe57
	v_mov_b32_e32 v83, v107
	v_lshl_add_u64 v[4:5], v[2:3], 0, s[2:3]
	global_load_dwordx2 v[6:7], v[0:1], off
	global_load_dwordx2 v[234:235], v82, s[14:15] offset:3808
	s_lshl_b64 s[8:9], s[4:5], 3
	global_load_dwordx2 v[2:3], v[2:3], off
	v_lshl_add_u64 v[90:91], s[14:15], 0, v[82:83]
	global_load_dwordx2 v[8:9], v[4:5], off
	v_lshl_add_u64 v[0:1], v[4:5], 0, s[8:9]
	s_movk_i32 s10, 0x1000
	global_load_dwordx2 v[4:5], v[0:1], off
	global_load_dwordx2 v[244:245], v82, s[14:15] offset:408
	v_lshl_add_u64 v[0:1], v[0:1], 0, s[2:3]
	v_add_co_u32_e32 v14, vcc, s10, v90
	global_load_dwordx2 v[10:11], v[0:1], off
	global_load_dwordx2 v[110:111], v82, s[14:15] offset:2312
	v_lshl_add_u64 v[0:1], v[0:1], 0, s[2:3]
	v_addc_co_u32_e32 v15, vcc, 0, v91, vcc
	global_load_dwordx2 v[12:13], v[0:1], off
	global_load_dwordx2 v[112:113], v[14:15], off offset:120
	v_lshl_add_u64 v[0:1], v[0:1], 0, s[8:9]
	global_load_dwordx2 v[16:17], v[0:1], off
	global_load_dwordx2 v[108:109], v82, s[14:15] offset:816
	v_lshl_add_u64 v[0:1], v[0:1], 0, s[2:3]
	global_load_dwordx2 v[18:19], v[0:1], off
	global_load_dwordx2 v[102:103], v82, s[14:15] offset:2720
	v_lshl_add_u64 v[0:1], v[0:1], 0, s[2:3]
	global_load_dwordx2 v[20:21], v[0:1], off
	global_load_dwordx2 v[100:101], v[14:15], off offset:528
	v_lshl_add_u64 v[0:1], v[0:1], 0, s[8:9]
	global_load_dwordx2 v[22:23], v[0:1], off
	global_load_dwordx2 v[98:99], v82, s[14:15] offset:1224
	v_lshl_add_u64 v[0:1], v[0:1], 0, s[2:3]
	global_load_dwordx2 v[24:25], v[0:1], off
	global_load_dwordx2 v[94:95], v82, s[14:15] offset:3128
	v_lshl_add_u64 v[0:1], v[0:1], 0, s[2:3]
	global_load_dwordx2 v[92:93], v[14:15], off offset:936
	global_load_dwordx2 v[26:27], v[0:1], off
	s_load_dwordx2 s[12:13], s[0:1], 0x38
	s_load_dwordx4 s[8:11], s[6:7], 0x0
	v_cmp_gt_u16_e64 s[6:7], 34, v106
	s_waitcnt vmcnt(21)
	v_mul_f32_e32 v14, v7, v249
	v_mul_f32_e32 v15, v6, v249
	v_fmac_f32_e32 v14, v6, v248
	v_fma_f32 v15, v7, v248, -v15
	s_waitcnt vmcnt(19)
	v_mul_f32_e32 v6, v3, v247
	v_mul_f32_e32 v7, v2, v247
	v_fmac_f32_e32 v6, v2, v246
	v_fma_f32 v7, v3, v246, -v7
	;; [unrolled: 5-line block ×3, first 2 shown]
	ds_write_b64 v82, v[6:7] offset:1904
	s_waitcnt vmcnt(16)
	v_mul_f32_e32 v6, v5, v245
	v_mul_f32_e32 v7, v4, v245
	ds_write_b64 v82, v[2:3] offset:3808
	s_waitcnt vmcnt(14)
	v_mul_f32_e32 v2, v10, v111
	v_fmac_f32_e32 v6, v4, v244
	v_fma_f32 v7, v5, v244, -v7
	v_fma_f32 v5, v11, v110, -v2
	s_waitcnt vmcnt(12)
	v_mul_f32_e32 v2, v12, v113
	v_mul_f32_e32 v4, v11, v111
	ds_write2_b64 v82, v[14:15], v[6:7] offset1:51
	v_fma_f32 v7, v13, v112, -v2
	s_waitcnt vmcnt(10)
	v_mul_f32_e32 v2, v16, v109
	v_fmac_f32_e32 v4, v10, v110
	v_fma_f32 v9, v17, v108, -v2
	s_waitcnt vmcnt(8)
	v_mul_f32_e32 v10, v19, v103
	v_mul_f32_e32 v2, v18, v103
	v_fmac_f32_e32 v10, v18, v102
	v_fma_f32 v11, v19, v102, -v2
	v_add_u32_e32 v2, 0x800, v82
	v_mul_f32_e32 v6, v13, v113
	ds_write2_b64 v2, v[4:5], v[10:11] offset0:33 offset1:84
	s_waitcnt vmcnt(6)
	v_mul_f32_e32 v4, v21, v101
	v_mul_f32_e32 v3, v20, v101
	v_fmac_f32_e32 v6, v12, v112
	v_fmac_f32_e32 v4, v20, v100
	v_fma_f32 v5, v21, v100, -v3
	v_add_u32_e32 v3, 0x1000, v82
	v_mul_f32_e32 v8, v17, v109
	ds_write2_b64 v3, v[6:7], v[4:5] offset0:15 offset1:66
	s_waitcnt vmcnt(4)
	v_mul_f32_e32 v4, v23, v99
	v_mul_f32_e32 v5, v22, v99
	v_fmac_f32_e32 v8, v16, v108
	v_fmac_f32_e32 v4, v22, v98
	v_fma_f32 v5, v23, v98, -v5
	ds_write2_b64 v82, v[8:9], v[4:5] offset0:102 offset1:153
	s_waitcnt vmcnt(2)
	v_mul_f32_e32 v4, v25, v95
	v_mul_f32_e32 v5, v24, v95
	v_fmac_f32_e32 v4, v24, v94
	v_fma_f32 v5, v25, v94, -v5
	ds_write_b64 v82, v[4:5] offset:3128
	s_waitcnt vmcnt(0)
	v_mul_f32_e32 v4, v27, v93
	v_mul_f32_e32 v5, v26, v93
	v_fmac_f32_e32 v4, v26, v92
	v_fma_f32 v5, v27, v92, -v5
	ds_write_b64 v82, v[4:5] offset:5032
	s_and_saveexec_b64 s[16:17], s[6:7]
	s_cbranch_execz .LBB0_3
; %bb.2:
	v_lshl_add_u64 v[0:1], s[4:5], 3, v[0:1]
	global_load_dwordx2 v[4:5], v[0:1], off
	v_lshl_add_u64 v[0:1], v[0:1], 0, s[2:3]
	v_add_co_u32_e32 v12, vcc, 0x1000, v90
	global_load_dwordx2 v[6:7], v[0:1], off
	global_load_dwordx2 v[8:9], v[90:91], off offset:1632
	global_load_dwordx2 v[10:11], v[90:91], off offset:3536
	v_addc_co_u32_e32 v13, vcc, 0, v91, vcc
	v_lshl_add_u64 v[0:1], v[0:1], 0, s[2:3]
	global_load_dwordx2 v[14:15], v[12:13], off offset:1344
	global_load_dwordx2 v[16:17], v[0:1], off
	v_add_u32_e32 v12, 0x600, v82
	s_waitcnt vmcnt(3)
	v_mul_f32_e32 v0, v5, v9
	v_mul_f32_e32 v1, v4, v9
	v_fmac_f32_e32 v0, v4, v8
	v_fma_f32 v1, v5, v8, -v1
	s_waitcnt vmcnt(2)
	v_mul_f32_e32 v4, v7, v11
	v_mul_f32_e32 v5, v6, v11
	v_fmac_f32_e32 v4, v6, v10
	v_fma_f32 v5, v7, v10, -v5
	;; [unrolled: 5-line block ×3, first 2 shown]
	ds_write2_b64 v12, v[0:1], v[4:5] offset0:12 offset1:250
	ds_write_b64 v82, v[6:7] offset:5440
.LBB0_3:
	s_or_b64 exec, exec, s[16:17]
	v_add_u32_e32 v0, 0x400, v82
	s_waitcnt lgkmcnt(0)
	; wave barrier
	s_waitcnt lgkmcnt(0)
	ds_read2_b64 v[24:27], v0 offset0:110 offset1:161
	v_add_u32_e32 v0, 0xc00, v82
	ds_read2_b64 v[20:23], v82 offset1:51
	ds_read2_b64 v[28:31], v0 offset0:92 offset1:143
	ds_read2_b64 v[4:7], v82 offset0:102 offset1:153
	;; [unrolled: 1-line block ×4, first 2 shown]
                                        ; implicit-def: $vgpr0
                                        ; implicit-def: $vgpr18
	s_and_saveexec_b64 s[2:3], s[6:7]
	s_cbranch_execz .LBB0_5
; %bb.4:
	v_add_u32_e32 v0, 0x600, v82
	ds_read2_b64 v[0:3], v0 offset0:12 offset1:250
	ds_read_b64 v[18:19], v82 offset:5440
.LBB0_5:
	s_or_b64 exec, exec, s[2:3]
	s_mov_b64 s[2:3], 0xcc
	s_waitcnt lgkmcnt(3)
	v_pk_add_f32 v[32:33], v[24:25], v[28:29]
	v_lshl_add_u64 v[36:37], v[106:107], 0, s[2:3]
	v_pk_add_f32 v[12:13], v[20:21], v[24:25]
	v_pk_fma_f32 v[32:33], v[32:33], 0.5, v[20:21] op_sel_hi:[1,0,1] neg_lo:[1,0,0] neg_hi:[1,0,0]
	v_pk_add_f32 v[20:21], v[24:25], v[28:29] neg_lo:[0,1] neg_hi:[0,1]
	s_mov_b32 s2, 0x3f5db3d7
	v_pk_mul_f32 v[24:25], v[20:21], s[2:3] op_sel_hi:[1,0]
	v_pk_add_f32 v[12:13], v[12:13], v[28:29]
	v_pk_add_f32 v[20:21], v[32:33], v[24:25] op_sel:[0,1] op_sel_hi:[1,0] neg_lo:[0,1] neg_hi:[0,1]
	v_pk_add_f32 v[60:61], v[24:25], v[32:33] op_sel:[1,0] op_sel_hi:[0,1]
	v_pk_add_f32 v[24:25], v[26:27], v[30:31]
	v_pk_add_f32 v[28:29], v[26:27], v[30:31] neg_lo:[0,1] neg_hi:[0,1]
	v_pk_add_f32 v[26:27], v[22:23], v[26:27]
	v_pk_fma_f32 v[22:23], v[24:25], 0.5, v[22:23] op_sel_hi:[1,0,1] neg_lo:[1,0,0] neg_hi:[1,0,0]
	v_pk_mul_f32 v[24:25], v[28:29], s[2:3] op_sel_hi:[1,0]
	v_add_u32_e32 v38, 51, v106
	v_pk_add_f32 v[32:33], v[22:23], v[24:25] op_sel:[0,1] op_sel_hi:[1,0] neg_lo:[0,1] neg_hi:[0,1]
	v_pk_add_f32 v[62:63], v[24:25], v[22:23] op_sel:[1,0] op_sel_hi:[0,1]
	s_waitcnt lgkmcnt(0)
	v_pk_add_f32 v[22:23], v[8:9], v[14:15]
	v_pk_add_f32 v[24:25], v[8:9], v[14:15] neg_lo:[0,1] neg_hi:[0,1]
	v_pk_add_f32 v[8:9], v[4:5], v[8:9]
	v_pk_fma_f32 v[4:5], v[22:23], 0.5, v[4:5] op_sel_hi:[1,0,1] neg_lo:[1,0,0] neg_hi:[1,0,0]
	v_pk_add_f32 v[34:35], v[8:9], v[14:15]
	v_pk_mul_f32 v[8:9], v[24:25], s[2:3] op_sel_hi:[1,0]
	s_nop 0
	v_pk_add_f32 v[44:45], v[4:5], v[8:9] op_sel:[0,1] op_sel_hi:[1,0] neg_lo:[0,1] neg_hi:[0,1]
	v_pk_add_f32 v[64:65], v[8:9], v[4:5] op_sel:[1,0] op_sel_hi:[0,1]
	v_pk_add_f32 v[4:5], v[10:11], v[16:17]
	v_pk_add_f32 v[8:9], v[10:11], v[16:17] neg_lo:[0,1] neg_hi:[0,1]
	v_pk_add_f32 v[10:11], v[6:7], v[10:11]
	v_pk_fma_f32 v[4:5], v[4:5], 0.5, v[6:7] op_sel_hi:[1,0,1] neg_lo:[1,0,0] neg_hi:[1,0,0]
	v_pk_mul_f32 v[6:7], v[8:9], s[2:3] op_sel_hi:[1,0]
	; wave barrier
	s_nop 0
	v_pk_add_f32 v[50:51], v[4:5], v[6:7] op_sel:[0,1] op_sel_hi:[1,0] neg_lo:[0,1] neg_hi:[0,1]
	v_pk_add_f32 v[66:67], v[6:7], v[4:5] op_sel:[1,0] op_sel_hi:[0,1]
	v_pk_add_f32 v[4:5], v[2:3], v[18:19]
	v_pk_add_f32 v[6:7], v[2:3], v[18:19] neg_lo:[0,1] neg_hi:[0,1]
	v_pk_add_f32 v[2:3], v[2:3], v[0:1]
	v_pk_fma_f32 v[0:1], v[4:5], 0.5, v[0:1] op_sel_hi:[1,0,1] neg_lo:[1,0,0] neg_hi:[1,0,0]
	v_pk_add_f32 v[56:57], v[18:19], v[2:3]
	v_pk_mul_f32 v[2:3], v[6:7], s[2:3] op_sel_hi:[1,0]
	v_pk_add_f32 v[46:47], v[26:27], v[30:31]
	v_pk_add_f32 v[52:53], v[0:1], v[2:3] op_sel:[0,1] op_sel_hi:[1,0] neg_lo:[0,1] neg_hi:[0,1]
	v_pk_add_f32 v[68:69], v[0:1], v[2:3] op_sel:[0,1] op_sel_hi:[1,0]
	v_mul_lo_u16_e32 v0, 3, v106
	v_lshlrev_b32_e32 v97, 3, v0
	v_mov_b32_e32 v0, v60
	v_mov_b32_e32 v1, v21
	ds_write2_b64 v97, v[12:13], v[0:1] offset1:1
	v_mov_b32_e32 v0, v20
	v_mov_b32_e32 v1, v61
	ds_write_b64 v97, v[0:1] offset:16
	v_mul_u32_u24_e32 v0, 3, v38
	v_lshlrev_b32_e32 v88, 3, v0
	v_mov_b32_e32 v0, v62
	v_mov_b32_e32 v1, v33
	v_add_u32_e32 v39, 0x66, v106
	ds_write2_b64 v88, v[46:47], v[0:1] offset1:1
	v_mov_b32_e32 v0, v32
	v_mov_b32_e32 v1, v63
	ds_write_b64 v88, v[0:1] offset:16
	v_mul_u32_u24_e32 v0, 3, v39
	v_lshlrev_b32_e32 v188, 3, v0
	v_mov_b32_e32 v0, v64
	v_mov_b32_e32 v1, v45
	v_add_u32_e32 v40, 0x99, v106
	ds_write2_b64 v188, v[34:35], v[0:1] offset1:1
	v_mov_b32_e32 v0, v44
	v_mov_b32_e32 v1, v65
	ds_write_b64 v188, v[0:1] offset:16
	v_mul_u32_u24_e32 v0, 3, v40
	v_pk_add_f32 v[14:15], v[10:11], v[16:17]
	v_lshlrev_b32_e32 v189, 3, v0
	v_mov_b32_e32 v0, v66
	v_mov_b32_e32 v1, v51
	ds_write2_b64 v189, v[14:15], v[0:1] offset1:1
	v_mov_b32_e32 v0, v50
	v_mov_b32_e32 v1, v67
	v_mul_u32_u24_e32 v236, 3, v36
	ds_write_b64 v189, v[0:1] offset:16
	s_and_saveexec_b64 s[2:3], s[6:7]
	s_cbranch_execz .LBB0_7
; %bb.6:
	v_lshlrev_b32_e32 v2, 3, v236
	v_mov_b32_e32 v0, v68
	v_mov_b32_e32 v1, v53
	ds_write2_b64 v2, v[56:57], v[0:1] offset1:1
	v_mov_b32_e32 v0, v52
	v_mov_b32_e32 v1, v69
	ds_write_b64 v2, v[0:1] offset:16
.LBB0_7:
	s_or_b64 exec, exec, s[2:3]
	s_load_dwordx2 s[0:1], s[0:1], 0x8
	v_cmp_gt_u16_e64 s[2:3], 42, v106
	v_cmp_lt_u16_e64 s[4:5], 41, v106
	s_waitcnt lgkmcnt(0)
	; wave barrier
	s_waitcnt lgkmcnt(0)
	s_and_saveexec_b64 s[16:17], s[4:5]
	s_xor_b64 s[16:17], exec, s[16:17]
	s_or_saveexec_b64 s[16:17], s[16:17]
                                        ; implicit-def: $vgpr22
                                        ; implicit-def: $vgpr70
                                        ; implicit-def: $vgpr48
	s_xor_b64 exec, exec, s[16:17]
	s_cbranch_execz .LBB0_9
; %bb.8:
	v_add_u32_e32 v1, 0xc00, v82
	ds_read2_b64 v[12:15], v82 offset1:42
	ds_read2_b64 v[20:23], v82 offset0:84 offset1:126
	ds_read2_b64 v[30:33], v82 offset0:168 offset1:210
	v_add_u32_e32 v0, 0x400, v82
	ds_read2_b64 v[56:59], v1 offset0:120 offset1:162
	v_add_u32_e32 v1, 0x1000, v82
	;; [unrolled: 2-line block ×3, first 2 shown]
	ds_read2_b64 v[52:55], v1 offset0:76 offset1:118
	ds_read2_b64 v[48:51], v0 offset0:164 offset1:206
	ds_read2_b64 v[44:47], v0 offset0:80 offset1:122
	ds_read_b64 v[70:71], v82 offset:5376
	s_waitcnt lgkmcnt(5)
	v_mov_b32_e32 v68, v58
	s_waitcnt lgkmcnt(3)
	v_mov_b32_e32 v69, v53
	;; [unrolled: 2-line block ×3, first 2 shown]
	v_mov_b32_e32 v67, v51
	v_mov_b32_e32 v64, v36
	s_waitcnt lgkmcnt(1)
	v_mov_b32_e32 v65, v45
	v_mov_b32_e32 v62, v30
	;; [unrolled: 1-line block ×10, first 2 shown]
	v_mov_b64_e32 v[14:15], v[46:47]
	v_mov_b64_e32 v[46:47], v[22:23]
	v_mov_b32_e32 v22, v55
	s_waitcnt lgkmcnt(0)
	v_mov_b32_e32 v48, v71
.LBB0_9:
	s_or_b64 exec, exec, s[16:17]
	s_movk_i32 s16, 0xab
	v_mul_lo_u16_sdwa v0, v106, s16 dst_sel:DWORD dst_unused:UNUSED_PAD src0_sel:BYTE_0 src1_sel:DWORD
	v_lshrrev_b16_e32 v120, 9, v0
	v_mul_lo_u16_e32 v0, 3, v120
	v_sub_u16_e32 v0, v106, v0
	v_and_b32_e32 v83, 0xff, v0
	v_lshlrev_b32_e32 v23, 7, v83
	global_load_dwordx4 v[0:3], v23, s[0:1] offset:32
	global_load_dwordx4 v[8:11], v23, s[0:1] offset:80
	global_load_dwordx4 v[4:7], v23, s[0:1]
	global_load_dwordx4 v[24:27], v23, s[0:1] offset:16
	global_load_dwordx4 v[16:19], v23, s[0:1] offset:48
	;; [unrolled: 1-line block ×5, first 2 shown]
	s_mov_b32 s24, 0xbf2c7751
	s_mov_b32 s18, 0x3f3d2fb0
	;; [unrolled: 1-line block ×22, first 2 shown]
	s_waitcnt lgkmcnt(0)
	; wave barrier
	s_waitcnt vmcnt(7)
	v_pk_mul_f32 v[58:59], v[34:35], v[2:3] op_sel:[1,0]
	s_waitcnt vmcnt(6)
	v_pk_mul_f32 v[74:75], v[56:57], v[10:11] op_sel:[1,0]
	;; [unrolled: 2-line block ×3, first 2 shown]
	v_pk_mul_f32 v[78:79], v[62:63], v[0:1] op_sel:[1,0]
	s_waitcnt vmcnt(3)
	v_pk_mul_f32 v[116:117], v[64:65], v[18:19] op_sel:[1,0]
	v_pk_mul_f32 v[76:77], v[60:61], v[6:7] op_sel:[1,0]
	s_waitcnt vmcnt(1)
	v_pk_mul_f32 v[22:23], v[22:23], v[40:41] op_sel_hi:[0,1]
	v_pk_mul_f32 v[48:49], v[48:49], v[42:43] op_sel_hi:[0,1]
	v_pk_mul_f32 v[86:87], v[32:33], v[26:27] op_sel:[1,0]
	v_pk_mul_f32 v[122:123], v[44:45], v[16:17] op_sel:[1,0]
	v_pk_fma_f32 v[72:73], v[34:35], v[2:3], v[58:59] op_sel:[0,0,1] op_sel_hi:[1,1,0] neg_lo:[0,0,1] neg_hi:[0,0,1]
	v_pk_fma_f32 v[34:35], v[34:35], v[2:3], v[58:59] op_sel:[0,0,1] op_sel_hi:[0,1,0]
	v_pk_fma_f32 v[58:59], v[56:57], v[10:11], v[74:75] op_sel:[0,0,1] op_sel_hi:[1,1,0] neg_lo:[0,0,1] neg_hi:[0,0,1]
	v_pk_fma_f32 v[134:135], v[56:57], v[10:11], v[74:75] op_sel:[0,0,1] op_sel_hi:[0,1,0]
	;; [unrolled: 2-line block ×7, first 2 shown]
	v_pk_mul_f32 v[118:119], v[66:67], v[8:9] op_sel:[1,0]
	v_pk_mul_f32 v[132:133], v[14:15], v[28:29] op_sel:[1,0]
	v_pk_fma_f32 v[114:115], v[20:21], v[6:7], v[76:77] op_sel:[0,0,1] op_sel_hi:[1,1,0] neg_lo:[0,0,1] neg_hi:[0,0,1]
	v_pk_fma_f32 v[20:21], v[20:21], v[6:7], v[76:77] op_sel:[0,0,1] op_sel_hi:[0,1,0]
	v_mov_b32_e32 v117, v55
	v_mov_b32_e32 v61, v49
	v_pk_mul_f32 v[124:125], v[50:51], v[30:31] op_sel:[1,0]
	s_waitcnt vmcnt(0)
	v_pk_mul_f32 v[128:129], v[52:53], v[36:37] op_sel:[1,0]
	v_pk_fma_f32 v[74:75], v[50:51], v[8:9], v[118:119] op_sel:[0,0,1] op_sel_hi:[1,1,0] neg_lo:[0,0,1] neg_hi:[0,0,1]
	v_pk_fma_f32 v[50:51], v[50:51], v[8:9], v[118:119] op_sel:[0,0,1] op_sel_hi:[0,1,0]
	v_pk_fma_f32 v[118:119], v[64:65], v[16:17], v[122:123] op_sel:[0,0,1] op_sel_hi:[1,1,0] neg_lo:[0,0,1] neg_hi:[0,0,1]
	v_pk_fma_f32 v[84:85], v[64:65], v[16:17], v[122:123] op_sel:[0,0,1] op_sel_hi:[0,1,0]
	;; [unrolled: 2-line block ×3, first 2 shown]
	v_mov_b32_e32 v115, v21
	v_mov_b32_e32 v57, v23
	v_pk_add_f32 v[122:123], v[116:117], v[60:61] neg_lo:[0,1] neg_hi:[0,1]
	v_pk_mul_f32 v[126:127], v[68:69], v[38:39] op_sel:[1,0]
	v_pk_mul_f32 v[130:131], v[46:47], v[24:25] op_sel:[1,0]
	v_pk_fma_f32 v[138:139], v[66:67], v[30:31], v[124:125] op_sel:[0,0,1] op_sel_hi:[1,1,0] neg_lo:[0,0,1] neg_hi:[0,0,1]
	v_pk_fma_f32 v[66:67], v[66:67], v[30:31], v[124:125] op_sel:[0,0,1] op_sel_hi:[0,1,0]
	v_pk_fma_f32 v[64:65], v[68:69], v[36:37], v[128:129] op_sel:[0,0,1] op_sel_hi:[1,1,0] neg_lo:[0,0,1] neg_hi:[0,0,1]
	v_pk_fma_f32 v[68:69], v[68:69], v[36:37], v[128:129] op_sel:[0,0,1] op_sel_hi:[0,1,0]
	v_mov_b32_e32 v71, v15
	v_pk_add_f32 v[14:15], v[116:117], v[60:61]
	v_pk_add_f32 v[124:125], v[114:115], v[56:57] neg_lo:[0,1] neg_hi:[0,1]
	v_pk_mul_f32 v[22:23], v[122:123], s[24:25] op_sel:[1,0] op_sel_hi:[0,0]
	v_pk_fma_f32 v[76:77], v[52:53], v[38:39], v[126:127] op_sel:[0,0,1] op_sel_hi:[1,1,0] neg_lo:[0,0,1] neg_hi:[0,0,1]
	v_pk_fma_f32 v[52:53], v[52:53], v[38:39], v[126:127] op_sel:[0,0,1] op_sel_hi:[0,1,0]
	v_pk_fma_f32 v[140:141], v[46:47], v[24:25], v[130:131] op_sel:[0,0,1] op_sel_hi:[1,1,0] neg_lo:[0,0,1] neg_hi:[0,0,1]
	v_pk_fma_f32 v[46:47], v[46:47], v[24:25], v[130:131] op_sel:[0,0,1] op_sel_hi:[0,1,0]
	;; [unrolled: 2-line block ×3, first 2 shown]
	v_mov_b32_e32 v81, v33
	v_mov_b32_e32 v139, v67
	;; [unrolled: 1-line block ×3, first 2 shown]
	v_pk_add_f32 v[20:21], v[114:115], v[56:57]
	v_pk_mul_f32 v[32:33], v[124:125], s[20:21] op_sel:[1,0] op_sel_hi:[0,0]
	v_pk_fma_f32 v[66:67], v[14:15], s[18:19], v[22:23] op_sel_hi:[1,0,1]
	v_pk_fma_f32 v[68:69], v[14:15], s[18:19], v[22:23] op_sel_hi:[1,0,1] neg_lo:[0,0,1] neg_hi:[0,0,1]
	v_mov_b32_e32 v141, v47
	v_mov_b32_e32 v143, v63
	;; [unrolled: 1-line block ×3, first 2 shown]
	v_pk_fma_f32 v[62:63], v[20:21], s[16:17], v[32:33] op_sel_hi:[1,0,1]
	v_mov_b32_e32 v22, v66
	v_mov_b32_e32 v23, v69
	v_pk_fma_f32 v[144:145], v[20:21], s[16:17], v[32:33] op_sel_hi:[1,0,1] neg_lo:[0,0,1] neg_hi:[0,0,1]
	v_pk_add_f32 v[22:23], v[12:13], v[22:23]
	v_mov_b32_e32 v32, v62
	v_mov_b32_e32 v33, v145
	v_pk_add_f32 v[126:127], v[140:141], v[76:77] neg_lo:[0,1] neg_hi:[0,1]
	v_mov_b32_e32 v73, v35
	v_pk_add_f32 v[32:33], v[32:33], v[22:23]
	v_pk_add_f32 v[22:23], v[140:141], v[76:77]
	v_pk_mul_f32 v[34:35], v[126:127], s[26:27] op_sel:[1,0] op_sel_hi:[0,0]
	v_pk_fma_f32 v[146:147], v[22:23], s[22:23], v[34:35] op_sel_hi:[1,0,1]
	v_pk_fma_f32 v[148:149], v[22:23], s[22:23], v[34:35] op_sel_hi:[1,0,1] neg_lo:[0,0,1] neg_hi:[0,0,1]
	v_mov_b32_e32 v34, v146
	v_mov_b32_e32 v35, v149
	v_pk_add_f32 v[128:129], v[142:143], v[64:65] neg_lo:[0,1] neg_hi:[0,1]
	v_mov_b32_e32 v79, v45
	v_pk_add_f32 v[34:35], v[34:35], v[32:33]
	v_pk_add_f32 v[32:33], v[142:143], v[64:65]
	v_pk_mul_f32 v[44:45], v[128:129], s[36:37] op_sel:[1,0] op_sel_hi:[0,0]
	v_mov_b32_e32 v119, v85
	v_mov_b32_e32 v59, v135
	v_pk_fma_f32 v[84:85], v[32:33], s[28:29], v[44:45] op_sel_hi:[1,0,1]
	v_pk_fma_f32 v[86:87], v[32:33], s[28:29], v[44:45] op_sel_hi:[1,0,1] neg_lo:[0,0,1] neg_hi:[0,0,1]
	v_mov_b32_e32 v44, v84
	v_mov_b32_e32 v45, v87
	v_pk_add_f32 v[130:131], v[80:81], v[58:59] neg_lo:[0,1] neg_hi:[0,1]
	v_pk_add_f32 v[44:45], v[44:45], v[34:35]
	v_pk_add_f32 v[34:35], v[80:81], v[58:59]
	v_pk_mul_f32 v[46:47], v[130:131], s[56:57] op_sel:[1,0] op_sel_hi:[0,0]
	v_mov_b32_e32 v75, v51
	v_pk_fma_f32 v[150:151], v[34:35], s[34:35], v[46:47] op_sel_hi:[1,0,1]
	v_pk_fma_f32 v[152:153], v[34:35], s[34:35], v[46:47] op_sel_hi:[1,0,1] neg_lo:[0,0,1] neg_hi:[0,0,1]
	v_mov_b32_e32 v46, v150
	v_mov_b32_e32 v47, v153
	v_pk_add_f32 v[134:135], v[72:73], v[74:75] neg_lo:[0,1] neg_hi:[0,1]
	v_pk_add_f32 v[44:45], v[46:47], v[44:45]
	v_pk_add_f32 v[48:49], v[72:73], v[74:75]
	v_pk_mul_f32 v[46:47], v[134:135], s[52:53] op_sel:[1,0] op_sel_hi:[0,0]
	v_pk_fma_f32 v[154:155], v[48:49], s[30:31], v[46:47] op_sel_hi:[1,0,1]
	v_pk_fma_f32 v[156:157], v[48:49], s[30:31], v[46:47] op_sel_hi:[1,0,1] neg_lo:[0,0,1] neg_hi:[0,0,1]
	v_mov_b32_e32 v46, v154
	v_mov_b32_e32 v47, v157
	v_pk_add_f32 v[136:137], v[118:119], v[138:139] neg_lo:[0,1] neg_hi:[0,1]
	v_pk_add_f32 v[44:45], v[46:47], v[44:45]
	v_pk_add_f32 v[50:51], v[118:119], v[138:139]
	v_pk_mul_f32 v[46:47], v[136:137], s[42:43] op_sel:[1,0] op_sel_hi:[0,0]
	v_pk_fma_f32 v[158:159], v[50:51], s[38:39], v[46:47] op_sel_hi:[1,0,1]
	v_pk_fma_f32 v[160:161], v[50:51], s[38:39], v[46:47] op_sel_hi:[1,0,1] neg_lo:[0,0,1] neg_hi:[0,0,1]
	v_mov_b32_e32 v46, v158
	v_mov_b32_e32 v47, v161
	v_pk_add_f32 v[46:47], v[46:47], v[44:45]
	v_pk_mul_f32 v[44:45], v[122:123], s[50:51] op_sel:[1,0] op_sel_hi:[0,0]
	v_pk_fma_f32 v[162:163], v[14:15], s[44:45], v[44:45] op_sel_hi:[1,0,1]
	v_pk_fma_f32 v[164:165], v[14:15], s[44:45], v[44:45] op_sel_hi:[1,0,1] neg_lo:[0,0,1] neg_hi:[0,0,1]
	v_pk_mul_f32 v[52:53], v[124:125], s[24:25] op_sel:[1,0] op_sel_hi:[0,0]
	v_mov_b32_e32 v44, v162
	v_mov_b32_e32 v45, v165
	v_pk_fma_f32 v[166:167], v[20:21], s[18:19], v[52:53] op_sel_hi:[1,0,1]
	v_pk_fma_f32 v[168:169], v[20:21], s[18:19], v[52:53] op_sel_hi:[1,0,1] neg_lo:[0,0,1] neg_hi:[0,0,1]
	v_pk_add_f32 v[44:45], v[12:13], v[44:45]
	v_mov_b32_e32 v52, v166
	v_mov_b32_e32 v53, v169
	v_pk_add_f32 v[44:45], v[52:53], v[44:45]
	v_pk_mul_f32 v[52:53], v[126:127], s[60:61] op_sel:[1,0] op_sel_hi:[0,0]
	v_pk_fma_f32 v[170:171], v[22:23], s[38:39], v[52:53] op_sel_hi:[1,0,1]
	v_pk_fma_f32 v[172:173], v[22:23], s[38:39], v[52:53] op_sel_hi:[1,0,1] neg_lo:[0,0,1] neg_hi:[0,0,1]
	v_mov_b32_e32 v52, v170
	v_mov_b32_e32 v53, v173
	v_pk_add_f32 v[44:45], v[52:53], v[44:45]
	v_pk_mul_f32 v[52:53], v[128:129], s[20:21] op_sel:[1,0] op_sel_hi:[0,0]
	v_pk_fma_f32 v[176:177], v[32:33], s[16:17], v[52:53] op_sel_hi:[1,0,1]
	v_pk_fma_f32 v[178:179], v[32:33], s[16:17], v[52:53] op_sel_hi:[1,0,1] neg_lo:[0,0,1] neg_hi:[0,0,1]
	;; [unrolled: 6-line block ×5, first 2 shown]
	v_mov_b32_e32 v52, v192
	v_mov_b32_e32 v53, v195
	v_pk_add_f32 v[226:227], v[78:79], v[70:71] neg_lo:[0,1] neg_hi:[0,1]
	v_pk_add_f32 v[44:45], v[52:53], v[44:45]
	v_pk_add_f32 v[54:55], v[78:79], v[70:71]
	v_pk_mul_f32 v[52:53], v[226:227], s[36:37] op_sel:[1,0] op_sel_hi:[0,0]
	v_pk_fma_f32 v[198:199], v[54:55], s[28:29], v[52:53] op_sel_hi:[1,0,1]
	v_pk_fma_f32 v[200:201], v[54:55], s[28:29], v[52:53] op_sel_hi:[1,0,1] neg_lo:[0,0,1] neg_hi:[0,0,1]
	v_mov_b32_e32 v52, v198
	v_mov_b32_e32 v53, v201
	v_pk_add_f32 v[132:133], v[52:53], v[44:45]
	v_pk_mul_f32 v[44:45], v[122:123], s[60:61] op_sel:[1,0] op_sel_hi:[0,0]
	v_pk_fma_f32 v[174:175], v[14:15], s[38:39], v[44:45] op_sel_hi:[1,0,1] neg_lo:[0,0,1] neg_hi:[0,0,1]
	v_pk_fma_f32 v[228:229], v[14:15], s[38:39], v[44:45] op_sel_hi:[1,0,1]
	v_pk_mul_f32 v[52:53], v[124:125], s[26:27] op_sel:[1,0] op_sel_hi:[0,0]
	v_mov_b32_e32 v44, v228
	v_mov_b32_e32 v45, v175
	v_pk_fma_f32 v[230:231], v[20:21], s[22:23], v[52:53] op_sel_hi:[1,0,1]
	v_pk_fma_f32 v[180:181], v[20:21], s[22:23], v[52:53] op_sel_hi:[1,0,1] neg_lo:[0,0,1] neg_hi:[0,0,1]
	v_pk_add_f32 v[44:45], v[12:13], v[44:45]
	v_mov_b32_e32 v52, v181
	v_mov_b32_e32 v53, v230
	v_pk_add_f32 v[44:45], v[52:53], v[44:45] op_sel:[0,1] op_sel_hi:[1,0]
	v_pk_mul_f32 v[52:53], v[126:127], s[40:41] op_sel:[1,0] op_sel_hi:[0,0]
	v_pk_fma_f32 v[232:233], v[22:23], s[28:29], v[52:53] op_sel_hi:[1,0,1]
	v_pk_fma_f32 v[196:197], v[22:23], s[28:29], v[52:53] op_sel_hi:[1,0,1] neg_lo:[0,0,1] neg_hi:[0,0,1]
	v_mov_b32_e32 v53, v232
	v_mov_b32_e32 v52, v197
	v_pk_add_f32 v[44:45], v[52:53], v[44:45]
	v_pk_mul_f32 v[52:53], v[128:129], s[52:53] op_sel:[1,0] op_sel_hi:[0,0]
	v_pk_fma_f32 v[202:203], v[32:33], s[30:31], v[52:53] op_sel_hi:[1,0,1]
	v_pk_fma_f32 v[204:205], v[32:33], s[30:31], v[52:53] op_sel_hi:[1,0,1] neg_lo:[0,0,1] neg_hi:[0,0,1]
	v_mov_b32_e32 v53, v202
	v_mov_b32_e32 v52, v205
	v_pk_add_f32 v[44:45], v[52:53], v[44:45]
	;; [unrolled: 6-line block ×7, first 2 shown]
	v_mul_u32_u24_e32 v150, 51, v120
	v_mov_b32_e32 v53, 0
	s_and_saveexec_b64 s[40:41], s[2:3]
	s_cbranch_execz .LBB0_11
; %bb.10:
	v_pk_add_f32 v[116:117], v[12:13], v[116:117]
	v_mov_b32_e32 v165, v163
	v_pk_add_f32 v[114:115], v[116:117], v[114:115]
	v_mov_b32_e32 v169, v167
	v_pk_add_f32 v[114:115], v[114:115], v[140:141]
	v_mov_b32_e32 v173, v171
	v_pk_add_f32 v[114:115], v[114:115], v[142:143]
	v_mov_b32_e32 v179, v177
	v_pk_add_f32 v[80:81], v[114:115], v[80:81]
	v_mov_b32_e32 v185, v183
	v_pk_add_f32 v[72:73], v[80:81], v[72:73]
	v_mov_b32_e32 v191, v187
	v_pk_add_f32 v[72:73], v[72:73], v[118:119]
	v_mov_b32_e32 v195, v193
	v_pk_add_f32 v[72:73], v[72:73], v[78:79]
	v_mov_b32_e32 v201, v199
	v_pk_add_f32 v[70:71], v[72:73], v[70:71]
	v_mov_b32_e32 v175, v229
	v_pk_add_f32 v[70:71], v[70:71], v[138:139]
	v_add_lshl_u32 v52, v150, v83, 3
	v_pk_add_f32 v[70:71], v[70:71], v[74:75]
	v_mov_b32_e32 v69, v67
	v_pk_add_f32 v[58:59], v[70:71], v[58:59]
	v_mov_b32_e32 v181, v231
	;; [unrolled: 2-line block ×4, first 2 shown]
	v_pk_add_f32 v[56:57], v[58:59], v[56:57]
	v_pk_add_f32 v[58:59], v[12:13], v[164:165]
	;; [unrolled: 1-line block ×4, first 2 shown]
	v_mov_b32_e32 v149, v147
	v_pk_add_f32 v[58:59], v[172:173], v[58:59]
	v_mov_b32_e32 v87, v85
	v_pk_add_f32 v[58:59], v[178:179], v[58:59]
	;; [unrolled: 2-line block ×6, first 2 shown]
	ds_write2_b64 v52, v[56:57], v[58:59] offset1:3
	v_pk_add_f32 v[56:57], v[12:13], v[68:69]
	v_pk_add_f32 v[58:59], v[12:13], v[174:175]
	;; [unrolled: 1-line block ×10, first 2 shown]
	v_mov_b32_e32 v213, v211
	v_pk_add_f32 v[56:57], v[156:157], v[56:57]
	v_mov_b32_e32 v161, v159
	v_pk_add_f32 v[58:59], v[212:213], v[58:59]
	;; [unrolled: 2-line block ×4, first 2 shown]
	v_mov_b32_e32 v221, v219
	v_mov_b32_e32 v120, v123
	;; [unrolled: 1-line block ×3, first 2 shown]
	v_pk_add_f32 v[56:57], v[224:225], v[56:57]
	v_pk_add_f32 v[58:59], v[220:221], v[58:59]
	ds_write2_b64 v52, v[56:57], v[58:59] offset0:6 offset1:9
	v_pk_mul_f32 v[58:59], v[120:121], s[20:21] op_sel_hi:[1,0]
	v_mov_b32_e32 v122, v125
	v_mov_b32_e32 v123, v124
	v_pk_fma_f32 v[56:57], v[14:15], s[16:17], v[58:59] op_sel_hi:[1,0,1] neg_lo:[0,0,1] neg_hi:[0,0,1]
	v_pk_fma_f32 v[58:59], v[14:15], s[16:17], v[58:59] op_sel_hi:[1,0,1]
	v_mov_b32_e32 v60, v56
	v_mov_b32_e32 v61, v59
	v_pk_mul_f32 v[62:63], v[122:123], s[36:37] op_sel_hi:[1,0]
	v_pk_add_f32 v[64:65], v[12:13], v[60:61]
	v_pk_fma_f32 v[60:61], v[20:21], s[28:29], v[62:63] op_sel_hi:[1,0,1] neg_lo:[0,0,1] neg_hi:[0,0,1]
	v_pk_fma_f32 v[62:63], v[20:21], s[28:29], v[62:63] op_sel_hi:[1,0,1]
	v_mov_b32_e32 v124, v127
	v_mov_b32_e32 v125, v126
	;; [unrolled: 1-line block ×4, first 2 shown]
	v_pk_add_f32 v[68:69], v[66:67], v[64:65]
	v_pk_mul_f32 v[66:67], v[124:125], s[52:53] op_sel_hi:[1,0]
	v_mov_b32_e32 v126, v129
	v_pk_fma_f32 v[64:65], v[22:23], s[30:31], v[66:67] op_sel_hi:[1,0,1] neg_lo:[0,0,1] neg_hi:[0,0,1]
	v_pk_fma_f32 v[66:67], v[22:23], s[30:31], v[66:67] op_sel_hi:[1,0,1]
	v_mov_b32_e32 v127, v128
	v_mov_b32_e32 v70, v64
	v_mov_b32_e32 v71, v67
	v_pk_add_f32 v[72:73], v[70:71], v[68:69]
	v_pk_mul_f32 v[70:71], v[126:127], s[58:59] op_sel_hi:[1,0]
	v_mov_b32_e32 v128, v131
	v_pk_fma_f32 v[68:69], v[32:33], s[44:45], v[70:71] op_sel_hi:[1,0,1] neg_lo:[0,0,1] neg_hi:[0,0,1]
	v_pk_fma_f32 v[70:71], v[32:33], s[44:45], v[70:71] op_sel_hi:[1,0,1]
	v_mov_b32_e32 v129, v130
	v_mov_b32_e32 v74, v68
	v_mov_b32_e32 v75, v71
	;; [unrolled: 8-line block ×3, first 2 shown]
	v_pk_add_f32 v[80:81], v[78:79], v[76:77]
	v_pk_mul_f32 v[78:79], v[130:131], s[48:49] op_sel_hi:[1,0]
	v_mov_b32_e32 v134, v137
	v_mov_b32_e32 v135, v136
	v_pk_fma_f32 v[76:77], v[48:49], s[34:35], v[78:79] op_sel_hi:[1,0,1] neg_lo:[0,0,1] neg_hi:[0,0,1]
	v_pk_fma_f32 v[78:79], v[48:49], s[34:35], v[78:79] op_sel_hi:[1,0,1]
	s_mov_b32 s62, 0x3f4c4adb
	v_mov_b32_e32 v84, v76
	v_mov_b32_e32 v85, v79
	v_pk_mul_f32 v[86:87], v[134:135], s[62:63] op_sel_hi:[1,0]
	v_pk_add_f32 v[84:85], v[84:85], v[80:81]
	v_pk_fma_f32 v[80:81], v[50:51], s[22:23], v[86:87] op_sel_hi:[1,0,1] neg_lo:[0,0,1] neg_hi:[0,0,1]
	v_pk_fma_f32 v[114:115], v[50:51], s[22:23], v[86:87] op_sel_hi:[1,0,1]
	v_mov_b32_e32 v136, v227
	v_mov_b32_e32 v137, v226
	;; [unrolled: 1-line block ×4, first 2 shown]
	v_pk_add_f32 v[84:85], v[86:87], v[84:85]
	v_pk_mul_f32 v[86:87], v[136:137], s[54:55] op_sel_hi:[1,0]
	v_pk_mul_f32 v[140:141], v[122:123], s[56:57] op_sel_hi:[1,0]
	v_pk_fma_f32 v[116:117], v[54:55], s[18:19], v[86:87] op_sel_hi:[1,0,1] neg_lo:[0,0,1] neg_hi:[0,0,1]
	v_pk_fma_f32 v[118:119], v[54:55], s[18:19], v[86:87] op_sel_hi:[1,0,1]
	v_mov_b32_e32 v86, v116
	v_mov_b32_e32 v87, v119
	v_pk_add_f32 v[152:153], v[86:87], v[84:85]
	v_pk_mul_f32 v[86:87], v[120:121], s[46:47] op_sel_hi:[1,0]
	v_pk_mul_f32 v[144:145], v[124:125], s[54:55] op_sel_hi:[1,0]
	v_pk_fma_f32 v[84:85], v[14:15], s[30:31], v[86:87] op_sel_hi:[1,0,1] neg_lo:[0,0,1] neg_hi:[0,0,1]
	v_pk_fma_f32 v[86:87], v[14:15], s[30:31], v[86:87] op_sel_hi:[1,0,1]
	v_mov_b32_e32 v138, v84
	v_mov_b32_e32 v139, v87
	v_pk_add_f32 v[142:143], v[12:13], v[138:139]
	v_pk_fma_f32 v[138:139], v[20:21], s[34:35], v[140:141] op_sel_hi:[1,0,1] neg_lo:[0,0,1] neg_hi:[0,0,1]
	v_pk_fma_f32 v[140:141], v[20:21], s[34:35], v[140:141] op_sel_hi:[1,0,1]
	v_mov_b32_e32 v146, v138
	v_mov_b32_e32 v147, v141
	v_pk_add_f32 v[146:147], v[146:147], v[142:143]
	v_pk_fma_f32 v[142:143], v[22:23], s[18:19], v[144:145] op_sel_hi:[1,0,1] neg_lo:[0,0,1] neg_hi:[0,0,1]
	v_pk_fma_f32 v[144:145], v[22:23], s[18:19], v[144:145] op_sel_hi:[1,0,1]
	v_pk_mul_f32 v[148:149], v[126:127], s[60:61] op_sel_hi:[1,0]
	v_mov_b32_e32 v162, v142
	v_mov_b32_e32 v163, v145
	v_pk_add_f32 v[162:163], v[162:163], v[146:147]
	v_pk_fma_f32 v[146:147], v[32:33], s[38:39], v[148:149] op_sel_hi:[1,0,1] neg_lo:[0,0,1] neg_hi:[0,0,1]
	v_pk_fma_f32 v[148:149], v[32:33], s[38:39], v[148:149] op_sel_hi:[1,0,1]
	v_pk_mul_f32 v[154:155], v[128:129], s[36:37] op_sel_hi:[1,0]
	v_mov_b32_e32 v164, v146
	v_mov_b32_e32 v165, v149
	s_mov_b32 s56, 0x3f7ee86f
	v_pk_add_f32 v[162:163], v[164:165], v[162:163]
	v_pk_fma_f32 v[164:165], v[34:35], s[28:29], v[154:155] op_sel_hi:[1,0,1] neg_lo:[0,0,1] neg_hi:[0,0,1]
	v_pk_fma_f32 v[154:155], v[34:35], s[28:29], v[154:155] op_sel_hi:[1,0,1]
	v_pk_mul_f32 v[156:157], v[130:131], s[56:57] op_sel_hi:[1,0]
	v_mov_b32_e32 v166, v164
	v_mov_b32_e32 v167, v155
	v_pk_add_f32 v[162:163], v[166:167], v[162:163]
	v_pk_fma_f32 v[166:167], v[48:49], s[16:17], v[156:157] op_sel_hi:[1,0,1] neg_lo:[0,0,1] neg_hi:[0,0,1]
	v_pk_fma_f32 v[156:157], v[48:49], s[16:17], v[156:157] op_sel_hi:[1,0,1]
	v_pk_mul_f32 v[158:159], v[134:135], s[50:51] op_sel_hi:[1,0]
	v_mov_b32_e32 v168, v166
	v_mov_b32_e32 v169, v157
	;; [unrolled: 6-line block ×3, first 2 shown]
	v_pk_add_f32 v[162:163], v[170:171], v[162:163]
	v_pk_fma_f32 v[170:171], v[54:55], s[22:23], v[160:161] op_sel_hi:[1,0,1] neg_lo:[0,0,1] neg_hi:[0,0,1]
	v_pk_fma_f32 v[160:161], v[54:55], s[22:23], v[160:161] op_sel_hi:[1,0,1]
	v_mov_b32_e32 v172, v170
	v_mov_b32_e32 v173, v161
	v_pk_add_f32 v[162:163], v[172:173], v[162:163]
	ds_write2_b64 v52, v[152:153], v[162:163] offset0:12 offset1:15
	v_pk_mul_f32 v[152:153], v[120:121], s[26:27] op_sel_hi:[1,0]
	v_pk_mul_f32 v[162:163], v[122:123], s[52:53] op_sel_hi:[1,0]
	v_pk_fma_f32 v[184:185], v[14:15], s[22:23], v[152:153] op_sel_hi:[1,0,1] neg_lo:[0,0,1] neg_hi:[0,0,1]
	v_pk_fma_f32 v[152:153], v[14:15], s[22:23], v[152:153] op_sel_hi:[1,0,1]
	v_mov_b32_e32 v186, v184
	v_mov_b32_e32 v187, v153
	v_pk_fma_f32 v[190:191], v[20:21], s[30:31], v[162:163] op_sel_hi:[1,0,1] neg_lo:[0,0,1] neg_hi:[0,0,1]
	v_pk_fma_f32 v[162:163], v[20:21], s[30:31], v[162:163] op_sel_hi:[1,0,1]
	v_pk_mul_f32 v[172:173], v[124:125], s[50:51] op_sel_hi:[1,0]
	v_pk_add_f32 v[186:187], v[12:13], v[186:187]
	v_mov_b32_e32 v192, v190
	v_mov_b32_e32 v193, v163
	v_pk_add_f32 v[186:187], v[192:193], v[186:187]
	v_pk_fma_f32 v[192:193], v[22:23], s[44:45], v[172:173] op_sel_hi:[1,0,1] neg_lo:[0,0,1] neg_hi:[0,0,1]
	v_pk_fma_f32 v[172:173], v[22:23], s[44:45], v[172:173] op_sel_hi:[1,0,1]
	v_pk_mul_f32 v[174:175], v[126:127], s[48:49] op_sel_hi:[1,0]
	v_mov_b32_e32 v194, v192
	v_mov_b32_e32 v195, v173
	v_pk_add_f32 v[186:187], v[194:195], v[186:187]
	v_pk_fma_f32 v[194:195], v[32:33], s[34:35], v[174:175] op_sel_hi:[1,0,1] neg_lo:[0,0,1] neg_hi:[0,0,1]
	v_pk_fma_f32 v[174:175], v[32:33], s[34:35], v[174:175] op_sel_hi:[1,0,1]
	v_pk_mul_f32 v[176:177], v[128:129], s[56:57] op_sel_hi:[1,0]
	;; [unrolled: 6-line block ×5, first 2 shown]
	v_mov_b32_e32 v202, v200
	v_mov_b32_e32 v203, v181
	v_pk_add_f32 v[186:187], v[202:203], v[186:187]
	v_pk_fma_f32 v[202:203], v[54:55], s[38:39], v[182:183] op_sel_hi:[1,0,1] neg_lo:[0,0,1] neg_hi:[0,0,1]
	v_pk_fma_f32 v[182:183], v[54:55], s[38:39], v[182:183] op_sel_hi:[1,0,1]
	v_mov_b32_e32 v204, v202
	v_mov_b32_e32 v205, v183
	v_pk_add_f32 v[186:187], v[204:205], v[186:187]
	v_pk_mul_f32 v[204:205], v[120:121], s[48:49] op_sel_hi:[1,0]
	v_pk_mul_f32 v[206:207], v[122:123], s[42:43] op_sel_hi:[1,0]
	v_pk_fma_f32 v[220:221], v[14:15], s[34:35], v[204:205] op_sel_hi:[1,0,1] neg_lo:[0,0,1] neg_hi:[0,0,1]
	v_pk_fma_f32 v[204:205], v[14:15], s[34:35], v[204:205] op_sel_hi:[1,0,1]
	v_mov_b32_e32 v222, v220
	v_mov_b32_e32 v223, v205
	v_pk_fma_f32 v[224:225], v[20:21], s[38:39], v[206:207] op_sel_hi:[1,0,1] neg_lo:[0,0,1] neg_hi:[0,0,1]
	v_pk_fma_f32 v[206:207], v[20:21], s[38:39], v[206:207] op_sel_hi:[1,0,1]
	v_pk_mul_f32 v[208:209], v[124:125], s[20:21] op_sel_hi:[1,0]
	v_pk_add_f32 v[222:223], v[12:13], v[222:223]
	v_mov_b32_e32 v226, v224
	v_mov_b32_e32 v227, v207
	v_pk_add_f32 v[222:223], v[226:227], v[222:223]
	v_pk_fma_f32 v[226:227], v[22:23], s[16:17], v[208:209] op_sel_hi:[1,0,1] neg_lo:[0,0,1] neg_hi:[0,0,1]
	v_pk_fma_f32 v[208:209], v[22:23], s[16:17], v[208:209] op_sel_hi:[1,0,1]
	v_pk_mul_f32 v[210:211], v[126:127], s[62:63] op_sel_hi:[1,0]
	v_mov_b32_e32 v228, v226
	v_mov_b32_e32 v229, v209
	v_pk_add_f32 v[222:223], v[228:229], v[222:223]
	v_pk_fma_f32 v[228:229], v[32:33], s[22:23], v[210:211] op_sel_hi:[1,0,1] neg_lo:[0,0,1] neg_hi:[0,0,1]
	v_pk_fma_f32 v[210:211], v[32:33], s[22:23], v[210:211] op_sel_hi:[1,0,1]
	v_pk_mul_f32 v[212:213], v[128:129], s[50:51] op_sel_hi:[1,0]
	v_mov_b32_e32 v230, v228
	v_mov_b32_e32 v231, v211
	v_pk_add_f32 v[222:223], v[230:231], v[222:223]
	v_pk_fma_f32 v[230:231], v[34:35], s[44:45], v[212:213] op_sel_hi:[1,0,1] neg_lo:[0,0,1] neg_hi:[0,0,1]
	v_pk_fma_f32 v[212:213], v[34:35], s[44:45], v[212:213] op_sel_hi:[1,0,1]
	v_pk_mul_f32 v[214:215], v[130:131], s[36:37] op_sel_hi:[1,0]
	v_mov_b32_e32 v232, v230
	v_mov_b32_e32 v233, v213
	v_pk_add_f32 v[222:223], v[232:233], v[222:223]
	v_pk_fma_f32 v[232:233], v[48:49], s[28:29], v[214:215] op_sel_hi:[1,0,1] neg_lo:[0,0,1] neg_hi:[0,0,1]
	v_pk_fma_f32 v[214:215], v[48:49], s[28:29], v[214:215] op_sel_hi:[1,0,1]
	v_pk_mul_f32 v[216:217], v[134:135], s[54:55] op_sel_hi:[1,0]
	v_mov_b32_e32 v238, v232
	v_mov_b32_e32 v239, v215
	v_pk_add_f32 v[222:223], v[238:239], v[222:223]
	v_pk_fma_f32 v[238:239], v[50:51], s[18:19], v[216:217] op_sel_hi:[1,0,1] neg_lo:[0,0,1] neg_hi:[0,0,1]
	v_pk_fma_f32 v[216:217], v[50:51], s[18:19], v[216:217] op_sel_hi:[1,0,1]
	v_pk_mul_f32 v[218:219], v[136:137], s[46:47] op_sel_hi:[1,0]
	v_mov_b32_e32 v240, v238
	v_mov_b32_e32 v241, v217
	v_pk_add_f32 v[222:223], v[240:241], v[222:223]
	v_pk_fma_f32 v[240:241], v[54:55], s[30:31], v[218:219] op_sel_hi:[1,0,1] neg_lo:[0,0,1] neg_hi:[0,0,1]
	v_pk_fma_f32 v[218:219], v[54:55], s[30:31], v[218:219] op_sel_hi:[1,0,1]
	v_mov_b32_e32 v242, v240
	v_mov_b32_e32 v243, v219
	v_pk_add_f32 v[222:223], v[242:243], v[222:223]
	v_pk_mul_f32 v[120:121], v[120:121], s[36:37] op_sel_hi:[1,0]
	ds_write2_b64 v52, v[186:187], v[222:223] offset0:18 offset1:21
	v_pk_mul_f32 v[122:123], v[122:123], s[58:59] op_sel_hi:[1,0]
	v_pk_fma_f32 v[186:187], v[14:15], s[28:29], v[120:121] op_sel_hi:[1,0,1] neg_lo:[0,0,1] neg_hi:[0,0,1]
	v_pk_fma_f32 v[14:15], v[14:15], s[28:29], v[120:121] op_sel_hi:[1,0,1]
	v_mov_b32_e32 v120, v186
	v_mov_b32_e32 v121, v15
	v_pk_fma_f32 v[222:223], v[20:21], s[44:45], v[122:123] op_sel_hi:[1,0,1] neg_lo:[0,0,1] neg_hi:[0,0,1]
	v_pk_fma_f32 v[20:21], v[20:21], s[44:45], v[122:123] op_sel_hi:[1,0,1]
	v_pk_mul_f32 v[124:125], v[124:125], s[48:49] op_sel_hi:[1,0]
	v_pk_add_f32 v[120:121], v[12:13], v[120:121]
	v_mov_b32_e32 v122, v222
	v_mov_b32_e32 v123, v21
	v_pk_add_f32 v[120:121], v[122:123], v[120:121]
	v_pk_fma_f32 v[122:123], v[22:23], s[34:35], v[124:125] op_sel_hi:[1,0,1] neg_lo:[0,0,1] neg_hi:[0,0,1]
	v_pk_fma_f32 v[22:23], v[22:23], s[34:35], v[124:125] op_sel_hi:[1,0,1]
	v_pk_mul_f32 v[126:127], v[126:127], s[54:55] op_sel_hi:[1,0]
	v_mov_b32_e32 v124, v122
	v_mov_b32_e32 v125, v23
	v_pk_add_f32 v[120:121], v[124:125], v[120:121]
	v_pk_fma_f32 v[124:125], v[32:33], s[18:19], v[126:127] op_sel_hi:[1,0,1] neg_lo:[0,0,1] neg_hi:[0,0,1]
	v_pk_fma_f32 v[32:33], v[32:33], s[18:19], v[126:127] op_sel_hi:[1,0,1]
	v_pk_mul_f32 v[128:129], v[128:129], s[26:27] op_sel_hi:[1,0]
	v_mov_b32_e32 v126, v124
	v_mov_b32_e32 v127, v33
	v_pk_add_f32 v[120:121], v[126:127], v[120:121]
	v_pk_fma_f32 v[126:127], v[34:35], s[22:23], v[128:129] op_sel_hi:[1,0,1] neg_lo:[0,0,1] neg_hi:[0,0,1]
	v_pk_fma_f32 v[34:35], v[34:35], s[22:23], v[128:129] op_sel_hi:[1,0,1]
	v_mov_b32_e32 v15, v187
	v_pk_mul_f32 v[130:131], v[130:131], s[42:43] op_sel_hi:[1,0]
	v_mov_b32_e32 v128, v126
	v_mov_b32_e32 v129, v35
	v_pk_add_f32 v[14:15], v[12:13], v[14:15]
	v_mov_b32_e32 v21, v223
	v_pk_add_f32 v[120:121], v[128:129], v[120:121]
	v_pk_fma_f32 v[128:129], v[48:49], s[38:39], v[130:131] op_sel_hi:[1,0,1] neg_lo:[0,0,1] neg_hi:[0,0,1]
	v_pk_fma_f32 v[48:49], v[48:49], s[38:39], v[130:131] op_sel_hi:[1,0,1]
	v_pk_add_f32 v[14:15], v[20:21], v[14:15]
	v_mov_b32_e32 v23, v123
	v_pk_mul_f32 v[134:135], v[134:135], s[46:47] op_sel_hi:[1,0]
	v_mov_b32_e32 v130, v128
	v_mov_b32_e32 v131, v49
	v_pk_add_f32 v[14:15], v[22:23], v[14:15]
	v_mov_b32_e32 v33, v125
	v_pk_add_f32 v[120:121], v[130:131], v[120:121]
	v_pk_fma_f32 v[130:131], v[50:51], s[30:31], v[134:135] op_sel_hi:[1,0,1] neg_lo:[0,0,1] neg_hi:[0,0,1]
	v_pk_fma_f32 v[50:51], v[50:51], s[30:31], v[134:135] op_sel_hi:[1,0,1]
	v_pk_add_f32 v[14:15], v[32:33], v[14:15]
	;; [unrolled: 10-line block ×3, first 2 shown]
	v_mov_b32_e32 v51, v131
	v_mov_b32_e32 v136, v134
	;; [unrolled: 1-line block ×3, first 2 shown]
	v_pk_add_f32 v[14:15], v[50:51], v[14:15]
	v_mov_b32_e32 v55, v135
	v_pk_add_f32 v[120:121], v[136:137], v[120:121]
	v_pk_add_f32 v[14:15], v[54:55], v[14:15]
	v_mov_b32_e32 v205, v221
	v_mov_b32_e32 v153, v185
	ds_write2_b64 v52, v[120:121], v[14:15] offset0:24 offset1:27
	v_pk_add_f32 v[14:15], v[12:13], v[204:205]
	v_mov_b32_e32 v207, v225
	v_pk_add_f32 v[20:21], v[12:13], v[152:153]
	v_mov_b32_e32 v163, v191
	;; [unrolled: 2-line block ×14, first 2 shown]
	v_pk_add_f32 v[14:15], v[218:219], v[14:15]
	v_pk_add_f32 v[20:21], v[182:183], v[20:21]
	v_mov_b32_e32 v87, v85
	v_mov_b32_e32 v59, v57
	ds_write2_b64 v52, v[14:15], v[20:21] offset0:30 offset1:33
	v_pk_add_f32 v[14:15], v[12:13], v[86:87]
	v_mov_b32_e32 v141, v139
	v_pk_add_f32 v[12:13], v[12:13], v[58:59]
	v_mov_b32_e32 v63, v61
	;; [unrolled: 2-line block ×14, first 2 shown]
	v_pk_add_f32 v[14:15], v[160:161], v[14:15]
	v_pk_add_f32 v[12:13], v[118:119], v[12:13]
	ds_write2_b64 v52, v[14:15], v[12:13] offset0:36 offset1:39
	v_mov_b32_e32 v12, v45
	v_mov_b32_e32 v13, v44
	ds_write2_b64 v52, v[12:13], v[46:47] offset0:42 offset1:45
	ds_write_b64 v52, v[132:133] offset:384
.LBB0_11:
	s_or_b64 exec, exec, s[40:41]
	v_mad_u64_u32 v[54:55], s[0:1], v106, 48, s[0:1]
	s_waitcnt lgkmcnt(0)
	; wave barrier
	s_waitcnt lgkmcnt(0)
	global_load_dwordx4 v[12:15], v[54:55], off offset:400
	global_load_dwordx4 v[32:35], v[54:55], off offset:384
	;; [unrolled: 1-line block ×3, first 2 shown]
	ds_read2_b64 v[60:63], v82 offset0:102 offset1:153
	ds_read2_b64 v[64:67], v82 offset0:204 offset1:255
	v_add_u32_e32 v56, 0x800, v82
	v_add_u32_e32 v58, 0xc00, v82
	;; [unrolled: 1-line block ×3, first 2 shown]
	ds_read2_b64 v[48:51], v82 offset1:51
	ds_read2_b64 v[68:71], v56 offset0:50 offset1:101
	ds_read2_b64 v[72:75], v56 offset0:152 offset1:203
	;; [unrolled: 1-line block ×4, first 2 shown]
	s_mov_b32 s22, 0x3d64c772
	s_mov_b32 s18, 0x3f5ff5aa
	;; [unrolled: 1-line block ×5, first 2 shown]
	s_movk_i32 s1, 0x1000
	s_mov_b32 s0, 0x3ee1c552
	s_mov_b32 s26, 0x3f4a47b2
	;; [unrolled: 1-line block ×3, first 2 shown]
	s_waitcnt lgkmcnt(0)
	; wave barrier
	s_waitcnt vmcnt(2) lgkmcnt(0)
	v_mov_b32_e32 v115, v12
	s_waitcnt vmcnt(1)
	v_mul_f32_e32 v59, v67, v35
	v_pk_mul_f32 v[118:119], v[68:69], v[12:13] op_sel:[0,1]
	v_mov_b32_e32 v52, v15
	v_pk_mul_f32 v[120:121], v[60:61], v[32:33] op_sel:[0,1]
	v_mov_b32_e32 v114, v35
	s_waitcnt vmcnt(0)
	v_pk_mul_f32 v[122:123], v[76:77], v[20:21] op_sel:[0,1]
	v_mov_b32_e32 v124, v23
	v_fma_f32 v125, v66, v34, -v59
	v_pk_fma_f32 v[128:129], v[68:69], v[12:13], v[118:119] op_sel:[0,0,1] op_sel_hi:[1,1,0] neg_lo:[0,0,1] neg_hi:[0,0,1]
	v_pk_fma_f32 v[68:69], v[68:69], v[12:13], v[118:119] op_sel:[0,0,1] op_sel_hi:[1,0,0]
	v_pk_mul_f32 v[118:119], v[72:73], v[52:53] op_sel_hi:[1,0]
	v_pk_fma_f32 v[130:131], v[60:61], v[32:33], v[120:121] op_sel:[0,0,1] op_sel_hi:[1,1,0] neg_lo:[0,0,1] neg_hi:[0,0,1]
	v_pk_fma_f32 v[60:61], v[60:61], v[32:33], v[120:121] op_sel:[0,0,1] op_sel_hi:[1,0,0]
	v_pk_mul_f32 v[120:121], v[64:65], v[114:115] op_sel_hi:[1,0]
	;; [unrolled: 3-line block ×3, first 2 shown]
	v_mov_b32_e32 v129, v69
	v_pk_fma_f32 v[68:69], v[72:73], v[14:15], v[118:119] op_sel:[0,0,1] op_sel_hi:[1,1,0] neg_lo:[0,0,1] neg_hi:[0,0,1]
	v_pk_fma_f32 v[72:73], v[72:73], v[14:15], v[118:119] op_sel:[0,0,1] op_sel_hi:[1,0,0]
	v_pk_fma_f32 v[118:119], v[64:65], v[34:35], v[120:121] op_sel:[0,0,1] op_sel_hi:[1,1,0] neg_lo:[0,0,1] neg_hi:[0,0,1]
	v_pk_fma_f32 v[64:65], v[64:65], v[34:35], v[120:121] op_sel:[0,0,1] op_sel_hi:[1,0,0]
	v_mov_b32_e32 v135, v77
	v_pk_fma_f32 v[76:77], v[84:85], v[22:23], v[122:123] op_sel:[0,0,1] op_sel_hi:[1,1,0] neg_lo:[0,0,1] neg_hi:[0,0,1]
	v_pk_fma_f32 v[84:85], v[84:85], v[22:23], v[122:123] op_sel:[0,0,1] op_sel_hi:[1,0,0]
	v_mov_b32_e32 v131, v61
	v_mov_b32_e32 v119, v65
	;; [unrolled: 1-line block ×4, first 2 shown]
	v_pk_add_f32 v[64:65], v[130:131], v[76:77]
	v_pk_add_f32 v[72:73], v[130:131], v[76:77] neg_lo:[0,1] neg_hi:[0,1]
	v_pk_add_f32 v[76:77], v[118:119], v[134:135]
	v_pk_add_f32 v[84:85], v[118:119], v[134:135] neg_lo:[0,1] neg_hi:[0,1]
	v_pk_add_f32 v[118:119], v[128:129], v[68:69]
	v_pk_add_f32 v[120:121], v[76:77], v[64:65]
	v_pk_add_f32 v[68:69], v[68:69], v[128:129] neg_lo:[0,1] neg_hi:[0,1]
	v_mov_b32_e32 v135, v119
	v_mov_b32_e32 v134, v120
	;; [unrolled: 1-line block ×3, first 2 shown]
	v_pk_add_f32 v[122:123], v[76:77], v[64:65] neg_lo:[0,1] neg_hi:[0,1]
	v_pk_add_f32 v[76:77], v[118:119], v[76:77] neg_lo:[0,1] neg_hi:[0,1]
	v_pk_add_f32 v[128:129], v[68:69], v[84:85] op_sel:[1,1] op_sel_hi:[0,0]
	v_pk_add_f32 v[130:131], v[68:69], v[84:85] op_sel:[1,1] op_sel_hi:[0,0] neg_lo:[0,1] neg_hi:[0,1]
	v_pk_add_f32 v[84:85], v[84:85], v[72:73] op_sel:[1,1] op_sel_hi:[0,0] neg_lo:[0,1] neg_hi:[0,1]
	v_pk_add_f32 v[120:121], v[134:135], v[120:121]
	v_pk_add_f32 v[64:65], v[64:65], v[118:119] neg_lo:[0,1] neg_hi:[0,1]
	v_pk_mul_f32 v[118:119], v[76:77], s[22:23] op_sel_hi:[1,0]
	v_pk_mul_f32 v[84:85], v[84:85], s[18:19] op_sel_hi:[1,0]
	v_pk_add_f32 v[48:49], v[48:49], v[120:121]
	v_pk_add_f32 v[68:69], v[72:73], v[68:69] op_sel:[1,1] op_sel_hi:[0,0] neg_lo:[0,1] neg_hi:[0,1]
	v_pk_add_f32 v[72:73], v[128:129], v[72:73] op_sel:[0,1] op_sel_hi:[1,0]
	v_pk_fma_f32 v[118:119], v[122:123], s[16:17], v[118:119] op_sel_hi:[1,0,1] neg_lo:[0,0,1] neg_hi:[0,0,1]
	v_pk_fma_f32 v[128:129], v[130:131], s[24:25], v[84:85] op_sel_hi:[1,0,1] neg_lo:[1,0,0] neg_hi:[1,0,0]
	;; [unrolled: 1-line block ×3, first 2 shown]
	v_pk_fma_f32 v[128:129], v[72:73], s[0:1], v[128:129] op_sel_hi:[1,0,1]
	v_pk_add_f32 v[118:119], v[118:119], v[120:121]
	v_pk_mul_f32 v[64:65], v[64:65], s[26:27] op_sel_hi:[1,0]
	v_pk_add_f32 v[134:135], v[118:119], v[128:129]
	v_pk_add_f32 v[118:119], v[118:119], v[128:129] neg_lo:[0,1] neg_hi:[0,1]
	v_pk_mul_f32 v[128:129], v[68:69], s[28:29] op_sel_hi:[1,0]
	v_pk_fma_f32 v[122:123], v[122:123], s[16:17], v[64:65] op_sel_hi:[1,0,1] neg_lo:[1,0,1] neg_hi:[1,0,1]
	v_pk_fma_f32 v[68:69], v[68:69], s[28:29], v[84:85] op_sel_hi:[1,0,1] neg_lo:[1,0,1] neg_hi:[1,0,1]
	v_pk_fma_f32 v[64:65], v[76:77], s[22:23], v[64:65] op_sel_hi:[1,0,1]
	v_pk_fma_f32 v[76:77], v[130:131], s[24:25], v[128:129] op_sel_hi:[1,0,1]
	;; [unrolled: 1-line block ×3, first 2 shown]
	v_pk_add_f32 v[64:65], v[64:65], v[120:121]
	v_pk_fma_f32 v[72:73], v[72:73], s[0:1], v[76:77] op_sel_hi:[1,0,1]
	v_pk_add_f32 v[84:85], v[122:123], v[120:121]
	v_pk_add_f32 v[76:77], v[64:65], v[72:73] neg_lo:[0,1] neg_hi:[0,1]
	v_pk_add_f32 v[64:65], v[64:65], v[72:73]
	v_mov_b32_e32 v73, v67
	v_mov_b32_e32 v120, v71
	;; [unrolled: 1-line block ×5, first 2 shown]
	v_mul_f32_e32 v80, v62, v33
	v_pk_add_f32 v[138:139], v[84:85], v[68:69] neg_lo:[0,1] neg_hi:[0,1]
	v_pk_add_f32 v[68:69], v[84:85], v[68:69]
	v_mov_b32_e32 v72, v70
	v_mov_b32_e32 v84, v12
	;; [unrolled: 1-line block ×3, first 2 shown]
	v_pk_mul_f32 v[66:67], v[120:121], v[66:67]
	v_fmac_f32_e32 v80, v63, v32
	v_pk_fma_f32 v[120:121], v[70:71], v[12:13], v[66:67] neg_lo:[0,0,1] neg_hi:[0,0,1]
	v_pk_fma_f32 v[66:67], v[72:73], v[84:85], v[66:67]
	v_mov_b32_e32 v72, v62
	v_mov_b32_e32 v62, v63
	;; [unrolled: 1-line block ×4, first 2 shown]
	v_mul_f32_e32 v81, v79, v21
	v_mov_b32_e32 v73, v71
	v_mov_b32_e32 v114, v32
	v_pk_mul_f32 v[62:63], v[62:63], v[12:13]
	v_fma_f32 v127, v78, v20, -v81
	v_pk_fma_f32 v[70:71], v[72:73], v[114:115], v[62:63] neg_lo:[0,0,1] neg_hi:[0,0,1]
	v_pk_fma_f32 v[62:63], v[72:73], v[114:115], v[62:63]
	v_mov_b32_e32 v73, v79
	v_mov_b32_e32 v122, v75
	;; [unrolled: 1-line block ×8, first 2 shown]
	v_pk_mul_f32 v[78:79], v[122:123], v[78:79]
	v_mov_b32_e32 v104, v22
	v_pk_fma_f32 v[128:129], v[74:75], v[14:15], v[78:79] neg_lo:[0,0,1] neg_hi:[0,0,1]
	v_pk_fma_f32 v[72:73], v[72:73], v[84:85], v[78:79]
	v_mov_b32_e32 v79, v75
	v_mov_b32_e32 v84, v87
	;; [unrolled: 1-line block ×7, first 2 shown]
	v_pk_mul_f32 v[74:75], v[84:85], v[74:75]
	v_mul_f32_e32 v116, v86, v23
	v_pk_fma_f32 v[84:85], v[78:79], v[104:105], v[74:75] neg_lo:[0,0,1] neg_hi:[0,0,1]
	v_pk_fma_f32 v[74:75], v[78:79], v[104:105], v[74:75]
	v_fmac_f32_e32 v116, v87, v22
	v_mov_b32_e32 v121, v67
	v_mov_b32_e32 v71, v63
	;; [unrolled: 1-line block ×12, first 2 shown]
	v_add_f32_e32 v137, v80, v116
	v_add_f32_e32 v60, v125, v127
	v_pk_add_f32 v[78:79], v[80:81], v[116:117] neg_lo:[0,1] neg_hi:[0,1]
	v_pk_add_f32 v[66:67], v[124:125], v[126:127] neg_lo:[0,1] neg_hi:[0,1]
	v_pk_add_f32 v[72:73], v[120:121], v[128:129]
	v_pk_add_f32 v[70:71], v[70:71], v[84:85]
	v_pk_add_f32 v[62:63], v[74:75], v[62:63] neg_lo:[0,1] neg_hi:[0,1]
	v_add_f32_e32 v74, v60, v70
	v_add_f32_e32 v81, v73, v137
	v_mov_b32_e32 v136, v72
	v_mov_b32_e32 v61, v71
	;; [unrolled: 1-line block ×8, first 2 shown]
	v_pk_add_f32 v[84:85], v[136:137], v[60:61] neg_lo:[0,1] neg_hi:[0,1]
	v_pk_add_f32 v[116:117], v[62:63], v[66:67]
	v_pk_add_f32 v[120:121], v[120:121], v[124:125] neg_lo:[0,1] neg_hi:[0,1]
	v_mov_b32_e32 v124, v78
	v_mov_b32_e32 v63, v67
	v_pk_add_f32 v[74:75], v[74:75], v[80:81]
	s_mov_b32 s23, s26
	s_mov_b32 s25, s28
	v_pk_add_f32 v[86:87], v[70:71], v[72:73] neg_lo:[0,1] neg_hi:[0,1]
	v_pk_add_f32 v[62:63], v[124:125], v[62:63] neg_lo:[0,1] neg_hi:[0,1]
	v_pk_add_f32 v[50:51], v[50:51], v[74:75]
	v_pk_mul_f32 v[84:85], v[84:85], s[22:23]
	s_mov_b32 s27, s22
	s_mov_b32 s29, s24
	v_pk_mul_f32 v[120:121], v[120:121], s[24:25]
	v_pk_add_f32 v[80:81], v[116:117], v[78:79]
	v_pk_mul_f32 v[116:117], v[86:87], s[26:27]
	v_pk_mul_f32 v[124:125], v[62:63], s[28:29]
	v_pk_fma_f32 v[74:75], v[74:75], s[20:21], v[50:51] op_sel_hi:[1,0,1] neg_lo:[1,0,0] neg_hi:[1,0,0]
	v_pk_fma_f32 v[86:87], v[86:87], s[26:27], v[84:85]
	v_pk_fma_f32 v[62:63], v[62:63], s[28:29], v[120:121]
	v_pk_add_f32 v[86:87], v[86:87], v[74:75]
	v_pk_fma_f32 v[62:63], v[80:81], s[0:1], v[62:63] op_sel_hi:[1,0,1]
	v_mov_b32_e32 v61, v73
	v_pk_add_f32 v[126:127], v[86:87], v[62:63] neg_lo:[0,1] neg_hi:[0,1]
	v_pk_add_f32 v[62:63], v[86:87], v[62:63]
	v_mov_b32_e32 v86, v64
	v_mov_b32_e32 v87, v77
	;; [unrolled: 1-line block ×4, first 2 shown]
	ds_write2_b64 v82, v[48:49], v[86:87] offset1:51
	ds_write2_b64 v56, v[76:77], v[50:51] offset0:50 offset1:101
	v_pk_add_f32 v[50:51], v[60:61], v[70:71] neg_lo:[0,1] neg_hi:[0,1]
	v_pk_add_f32 v[60:61], v[66:67], v[78:79] neg_lo:[0,1] neg_hi:[0,1]
	v_mov_b32_e32 v64, v116
	v_mov_b32_e32 v65, v85
	;; [unrolled: 1-line block ×4, first 2 shown]
	v_pk_fma_f32 v[64:65], v[50:51], s[16:17], v[64:65] op_sel_hi:[1,0,1] neg_lo:[1,0,1] neg_hi:[1,0,1]
	v_pk_fma_f32 v[66:67], v[60:61], s[18:19], v[66:67] op_sel_hi:[1,0,1] neg_lo:[1,0,1] neg_hi:[1,0,1]
	v_pk_add_f32 v[64:65], v[64:65], v[74:75]
	v_pk_fma_f32 v[66:67], v[80:81], s[0:1], v[66:67] op_sel_hi:[1,0,1]
	v_mov_b32_e32 v48, v68
	v_mov_b32_e32 v49, v139
	;; [unrolled: 1-line block ×5, first 2 shown]
	v_pk_add_f32 v[68:69], v[64:65], v[66:67] neg_lo:[0,1] neg_hi:[0,1]
	v_pk_add_f32 v[64:65], v[64:65], v[66:67]
	ds_write2_b64 v82, v[48:49], v[86:87] offset0:102 offset1:153
	v_mov_b32_e32 v48, v62
	v_mov_b32_e32 v49, v127
	;; [unrolled: 1-line block ×6, first 2 shown]
	ds_write2_b64 v56, v[48:49], v[66:67] offset0:152 offset1:203
	v_pk_fma_f32 v[48:49], v[50:51], s[16:17], v[84:85] op_sel_hi:[1,0,1] neg_lo:[0,0,1] neg_hi:[0,0,1]
	v_pk_fma_f32 v[50:51], v[60:61], s[18:19], v[120:121] op_sel_hi:[1,0,1] neg_lo:[0,0,1] neg_hi:[0,0,1]
	v_pk_add_f32 v[48:49], v[48:49], v[74:75]
	v_pk_fma_f32 v[50:51], v[80:81], s[0:1], v[50:51] op_sel_hi:[1,0,1]
	v_mov_b32_e32 v135, v119
	v_pk_add_f32 v[60:61], v[48:49], v[50:51]
	v_pk_add_f32 v[48:49], v[48:49], v[50:51] neg_lo:[0,1] neg_hi:[0,1]
	v_mov_b32_e32 v51, v61
	v_mov_b32_e32 v50, v48
	;; [unrolled: 1-line block ×3, first 2 shown]
	v_mul_hi_i32_i24_e32 v49, 0xffffffd8, v106
	v_mul_i32_i24_e32 v48, 0xffffffd8, v106
	v_lshl_add_u64 v[48:49], v[54:55], 0, v[48:49]
	ds_write2_b64 v58, v[50:51], v[60:61] offset0:126 offset1:177
	v_add_co_u32_e32 v50, vcc, s1, v48
	v_mov_b32_e32 v69, v65
	v_mov_b32_e32 v127, v63
	v_addc_co_u32_e32 v51, vcc, 0, v49, vcc
	ds_write2_b64 v82, v[134:135], v[138:139] offset0:204 offset1:255
	ds_write2_b64 v57, v[68:69], v[126:127] offset0:100 offset1:151
	s_waitcnt lgkmcnt(0)
	; wave barrier
	s_waitcnt lgkmcnt(0)
	global_load_dwordx2 v[116:117], v[50:51], off offset:1184
	global_load_dwordx2 v[120:121], v[50:51], off offset:368
	;; [unrolled: 1-line block ×7, first 2 shown]
	ds_read2_b64 v[60:63], v57 offset0:100 offset1:151
	ds_read2_b64 v[64:67], v56 offset0:50 offset1:101
	;; [unrolled: 1-line block ×3, first 2 shown]
	v_lshlrev_b32_e32 v52, 3, v106
	v_lshl_add_u64 v[74:75], s[14:15], 0, v[52:53]
	s_waitcnt vmcnt(6) lgkmcnt(2)
	v_pk_mul_f32 v[48:49], v[62:63], v[116:117] op_sel_hi:[1,0]
	s_nop 0
	v_pk_fma_f32 v[50:51], v[62:63], v[116:117], v[48:49] op_sel:[0,1,1] op_sel_hi:[1,1,0] neg_lo:[1,0,0] neg_hi:[1,0,0]
	v_pk_fma_f32 v[48:49], v[62:63], v[116:117], v[48:49] op_sel:[0,1,1] op_sel_hi:[1,1,0]
	s_nop 0
	v_mov_b32_e32 v49, v51
	s_waitcnt lgkmcnt(1)
	v_pk_add_f32 v[48:49], v[64:65], v[48:49] op_sel:[1,0] op_sel_hi:[0,1] neg_lo:[0,1] neg_hi:[0,1]
	v_pk_fma_f32 v[52:53], v[64:65], 2.0, v[48:49] op_sel:[0,0,1] op_sel_hi:[1,0,0] neg_lo:[0,0,1] neg_hi:[0,0,1]
	ds_read2_b64 v[62:65], v82 offset0:204 offset1:255
	s_waitcnt vmcnt(5) lgkmcnt(1)
	v_pk_mul_f32 v[50:51], v[70:71], v[120:121] op_sel:[0,1]
	v_mov_b32_e32 v54, v49
	v_pk_fma_f32 v[72:73], v[70:71], v[120:121], v[50:51] op_sel:[0,0,1] op_sel_hi:[1,1,0] neg_lo:[0,0,1] neg_hi:[0,0,1]
	v_pk_fma_f32 v[50:51], v[70:71], v[120:121], v[50:51] op_sel:[0,0,1] op_sel_hi:[1,0,0]
	s_waitcnt vmcnt(3)
	v_pk_mul_f32 v[70:71], v[66:67], v[130:131] op_sel:[0,1]
	v_mov_b32_e32 v73, v51
	s_waitcnt lgkmcnt(0)
	v_pk_add_f32 v[50:51], v[62:63], v[72:73] neg_lo:[0,1] neg_hi:[0,1]
	v_pk_fma_f32 v[72:73], v[66:67], v[130:131], v[70:71] op_sel:[0,0,1] op_sel_hi:[1,1,0] neg_lo:[0,0,1] neg_hi:[0,0,1]
	v_pk_fma_f32 v[76:77], v[62:63], 2.0, v[50:51] op_sel_hi:[1,0,1] neg_lo:[0,0,1] neg_hi:[0,0,1]
	v_pk_mul_f32 v[62:63], v[60:61], v[118:119] op_sel:[0,1]
	v_pk_fma_f32 v[66:67], v[66:67], v[130:131], v[70:71] op_sel:[0,0,1] op_sel_hi:[1,0,0]
	v_pk_fma_f32 v[78:79], v[60:61], v[118:119], v[62:63] op_sel:[0,0,1] op_sel_hi:[1,1,0] neg_lo:[0,0,1] neg_hi:[0,0,1]
	v_pk_fma_f32 v[80:81], v[60:61], v[118:119], v[62:63] op_sel:[0,0,1] op_sel_hi:[1,0,0]
	ds_read2_b64 v[60:63], v82 offset1:51
	v_mov_b32_e32 v73, v67
	v_mov_b32_e32 v79, v81
	v_pk_add_f32 v[78:79], v[64:65], v[78:79] neg_lo:[0,1] neg_hi:[0,1]
	v_mov_b32_e32 v55, v48
	s_waitcnt lgkmcnt(0)
	v_pk_add_f32 v[66:67], v[60:61], v[72:73] neg_lo:[0,1] neg_hi:[0,1]
	ds_write_b64 v82, v[66:67] offset:2856
	ds_read2_b64 v[70:73], v56 offset0:152 offset1:203
	v_pk_fma_f32 v[66:67], v[60:61], 2.0, v[66:67] op_sel_hi:[1,0,1] neg_lo:[0,0,1] neg_hi:[0,0,1]
	v_pk_fma_f32 v[64:65], v[64:65], 2.0, v[78:79] op_sel_hi:[1,0,1] neg_lo:[0,0,1] neg_hi:[0,0,1]
	s_waitcnt vmcnt(2) lgkmcnt(0)
	v_pk_mul_f32 v[60:61], v[70:71], v[128:129] op_sel:[0,1]
	s_nop 0
	v_pk_fma_f32 v[80:81], v[70:71], v[128:129], v[60:61] op_sel:[0,0,1] op_sel_hi:[1,1,0] neg_lo:[0,0,1] neg_hi:[0,0,1]
	v_pk_fma_f32 v[60:61], v[70:71], v[128:129], v[60:61] op_sel:[0,0,1] op_sel_hi:[1,0,0]
	s_nop 0
	v_mov_b32_e32 v81, v61
	v_pk_add_f32 v[60:61], v[62:63], v[80:81] neg_lo:[0,1] neg_hi:[0,1]
	ds_write_b64 v82, v[60:61] offset:3264
	v_pk_fma_f32 v[70:71], v[62:63], 2.0, v[60:61] op_sel_hi:[1,0,1] neg_lo:[0,0,1] neg_hi:[0,0,1]
	ds_read2_b64 v[60:63], v82 offset0:102 offset1:153
	s_waitcnt vmcnt(1)
	v_pk_mul_f32 v[80:81], v[68:69], v[124:125] op_sel:[0,1]
	s_nop 0
	v_pk_fma_f32 v[84:85], v[68:69], v[124:125], v[80:81] op_sel:[0,0,1] op_sel_hi:[1,1,0] neg_lo:[0,0,1] neg_hi:[0,0,1]
	v_pk_fma_f32 v[68:69], v[68:69], v[124:125], v[80:81] op_sel:[0,0,1] op_sel_hi:[1,0,0]
	s_waitcnt vmcnt(0)
	v_pk_mul_f32 v[80:81], v[72:73], v[126:127] op_sel:[0,1]
	v_mov_b32_e32 v85, v69
	s_waitcnt lgkmcnt(0)
	v_pk_add_f32 v[68:69], v[62:63], v[84:85] neg_lo:[0,1] neg_hi:[0,1]
	v_pk_fma_f32 v[84:85], v[72:73], v[126:127], v[80:81] op_sel:[0,0,1] op_sel_hi:[1,1,0] neg_lo:[0,0,1] neg_hi:[0,0,1]
	v_pk_fma_f32 v[72:73], v[72:73], v[126:127], v[80:81] op_sel:[0,0,1] op_sel_hi:[1,0,0]
	v_pk_fma_f32 v[62:63], v[62:63], 2.0, v[68:69] op_sel_hi:[1,0,1] neg_lo:[0,0,1] neg_hi:[0,0,1]
	v_mov_b32_e32 v85, v73
	v_pk_add_f32 v[72:73], v[60:61], v[84:85] neg_lo:[0,1] neg_hi:[0,1]
	ds_write2_b64 v82, v[66:67], v[70:71] offset1:51
	ds_write_b64 v82, v[72:73] offset:3672
	v_pk_fma_f32 v[60:61], v[60:61], 2.0, v[72:73] op_sel_hi:[1,0,1] neg_lo:[0,0,1] neg_hi:[0,0,1]
	ds_write2_b64 v82, v[60:61], v[62:63] offset0:102 offset1:153
	ds_write2_b64 v58, v[68:69], v[50:51] offset0:126 offset1:177
	;; [unrolled: 1-line block ×3, first 2 shown]
	ds_write_b64 v82, v[52:53] offset:2448
	ds_write2_b64 v57, v[78:79], v[54:55] offset0:100 offset1:151
	v_add_co_u32_e32 v50, vcc, s1, v74
	s_waitcnt lgkmcnt(0)
	s_nop 0
	v_addc_co_u32_e32 v51, vcc, 0, v75, vcc
	; wave barrier
	global_load_dwordx2 v[64:65], v[50:51], off offset:1616
	s_mov_b64 s[0:1], 0x1650
	v_lshl_add_u64 v[50:51], v[74:75], 0, s[0:1]
	global_load_dwordx2 v[72:73], v[50:51], off offset:1904
	global_load_dwordx2 v[76:77], v[50:51], off offset:3808
	;; [unrolled: 1-line block ×4, first 2 shown]
	s_movk_i32 s0, 0x2000
	v_add_co_u32_e32 v60, vcc, s0, v74
	s_nop 1
	v_addc_co_u32_e32 v61, vcc, 0, v75, vcc
	global_load_dwordx2 v[74:75], v[60:61], off offset:1736
	global_load_dwordx2 v[84:85], v[50:51], off offset:816
	;; [unrolled: 1-line block ×7, first 2 shown]
	ds_read2_b64 v[60:63], v82 offset1:51
	s_waitcnt vmcnt(11) lgkmcnt(0)
	v_mul_f32_e32 v12, v61, v65
	v_mul_f32_e32 v67, v60, v65
	v_fma_f32 v66, v60, v64, -v12
	v_fmac_f32_e32 v67, v61, v64
	ds_write_b64 v82, v[66:67]
	v_add_u32_e32 v12, 0x400, v82
	ds_read2_b64 v[64:67], v12 offset0:110 offset1:161
	ds_read2_b64 v[68:71], v58 offset0:92 offset1:143
	s_waitcnt vmcnt(10) lgkmcnt(1)
	v_mul_f32_e32 v59, v65, v73
	v_fma_f32 v142, v64, v72, -v59
	v_mul_f32_e32 v143, v64, v73
	s_waitcnt vmcnt(9) lgkmcnt(0)
	v_mul_f32_e32 v59, v69, v77
	v_mul_f32_e32 v73, v68, v77
	v_fmac_f32_e32 v143, v65, v72
	v_fma_f32 v72, v68, v76, -v59
	v_fmac_f32_e32 v73, v69, v76
	s_waitcnt vmcnt(8)
	v_mul_f32_e32 v59, v63, v79
	v_mul_f32_e32 v69, v62, v79
	v_fma_f32 v68, v62, v78, -v59
	v_fmac_f32_e32 v69, v63, v78
	ds_read2_b64 v[60:63], v82 offset0:102 offset1:153
	s_waitcnt vmcnt(7)
	v_mul_f32_e32 v59, v67, v81
	v_fma_f32 v76, v66, v80, -v59
	v_mul_f32_e32 v77, v66, v81
	s_waitcnt vmcnt(6)
	v_mul_f32_e32 v59, v71, v75
	v_mul_f32_e32 v79, v70, v75
	v_fmac_f32_e32 v77, v67, v80
	v_fma_f32 v78, v70, v74, -v59
	v_fmac_f32_e32 v79, v71, v74
	s_waitcnt vmcnt(5) lgkmcnt(0)
	v_mul_f32_e32 v59, v61, v85
	ds_read2_b64 v[64:67], v56 offset0:84 offset1:135
	v_mul_f32_e32 v71, v60, v85
	v_fma_f32 v70, v60, v84, -v59
	v_fmac_f32_e32 v71, v61, v84
	ds_write2_b64 v82, v[68:69], v[70:71] offset0:51 offset1:102
	ds_read2_b64 v[68:71], v57 offset0:66 offset1:117
	s_waitcnt vmcnt(4) lgkmcnt(2)
	v_mul_f32_e32 v59, v65, v87
	v_mul_f32_e32 v61, v64, v87
	v_fma_f32 v60, v64, v86, -v59
	v_fmac_f32_e32 v61, v65, v86
	ds_write2_b64 v56, v[76:77], v[60:61] offset0:33 offset1:84
	s_waitcnt vmcnt(3) lgkmcnt(1)
	v_mul_f32_e32 v59, v69, v135
	v_mul_f32_e32 v61, v68, v135
	v_fma_f32 v60, v68, v134, -v59
	v_fmac_f32_e32 v61, v69, v134
	ds_write2_b64 v57, v[78:79], v[60:61] offset0:15 offset1:66
	s_waitcnt vmcnt(2)
	v_mul_f32_e32 v59, v63, v137
	v_mul_f32_e32 v61, v62, v137
	v_fma_f32 v60, v62, v136, -v59
	v_fmac_f32_e32 v61, v63, v136
	ds_write2_b64 v82, v[60:61], v[142:143] offset0:153 offset1:238
	s_waitcnt vmcnt(1)
	v_mul_f32_e32 v59, v67, v139
	v_mul_f32_e32 v61, v66, v139
	v_fma_f32 v60, v66, v138, -v59
	v_fmac_f32_e32 v61, v67, v138
	ds_write2_b64 v56, v[60:61], v[72:73] offset0:135 offset1:220
	s_waitcnt vmcnt(0)
	v_mul_f32_e32 v59, v71, v141
	v_mul_f32_e32 v61, v70, v141
	v_fma_f32 v60, v70, v140, -v59
	v_fmac_f32_e32 v61, v71, v140
	ds_write_b64 v82, v[60:61] offset:5032
	s_and_saveexec_b64 s[0:1], s[6:7]
	s_cbranch_execz .LBB0_13
; %bb.12:
	global_load_dwordx2 v[64:65], v[50:51], off offset:1632
	global_load_dwordx2 v[66:67], v[50:51], off offset:3536
	v_add_co_u32_e32 v50, vcc, 0x1000, v50
	v_add_u32_e32 v59, 0x600, v82
	s_nop 0
	v_addc_co_u32_e32 v51, vcc, 0, v51, vcc
	global_load_dwordx2 v[50:51], v[50:51], off offset:1344
	ds_read2_b64 v[60:63], v59 offset0:12 offset1:250
	ds_read_b64 v[68:69], v82 offset:5440
	s_waitcnt vmcnt(2) lgkmcnt(1)
	v_mul_f32_e32 v70, v61, v65
	v_mul_f32_e32 v71, v60, v65
	s_waitcnt vmcnt(1)
	v_mul_f32_e32 v72, v63, v67
	v_mul_f32_e32 v65, v62, v67
	v_fma_f32 v70, v60, v64, -v70
	v_fmac_f32_e32 v71, v61, v64
	v_fma_f32 v64, v62, v66, -v72
	v_fmac_f32_e32 v65, v63, v66
	ds_write2_b64 v59, v[70:71], v[64:65] offset0:12 offset1:250
	s_waitcnt vmcnt(0) lgkmcnt(1)
	v_mul_f32_e32 v59, v69, v51
	v_mul_f32_e32 v61, v68, v51
	v_fma_f32 v60, v68, v50, -v59
	v_fmac_f32_e32 v61, v69, v50
	ds_write_b64 v82, v[60:61] offset:5440
.LBB0_13:
	s_or_b64 exec, exec, s[0:1]
	s_waitcnt lgkmcnt(0)
	; wave barrier
	s_waitcnt lgkmcnt(0)
	ds_read2_b64 v[70:73], v82 offset1:51
	ds_read2_b64 v[74:77], v12 offset0:110 offset1:161
	ds_read2_b64 v[78:81], v58 offset0:92 offset1:143
	;; [unrolled: 1-line block ×5, first 2 shown]
	s_and_saveexec_b64 s[0:1], s[6:7]
	s_cbranch_execz .LBB0_15
; %bb.14:
	v_add_u32_e32 v12, 0x600, v82
	ds_read_b64 v[50:51], v82 offset:5440
	ds_read2_b64 v[52:55], v12 offset0:12 offset1:250
	s_waitcnt lgkmcnt(1)
	v_mov_b32_e32 v44, v51
	s_waitcnt lgkmcnt(0)
	v_mov_b32_e32 v48, v55
	v_mov_b32_e32 v49, v54
	v_mov_b32_e32 v45, v50
.LBB0_15:
	s_or_b64 exec, exec, s[0:1]
	s_waitcnt lgkmcnt(4)
	v_pk_add_f32 v[50:51], v[70:71], v[74:75]
	s_waitcnt lgkmcnt(3)
	v_pk_add_f32 v[56:57], v[74:75], v[78:79] neg_lo:[0,1] neg_hi:[0,1]
	v_pk_add_f32 v[134:135], v[50:51], v[78:79]
	v_pk_add_f32 v[50:51], v[74:75], v[78:79]
	s_mov_b32 s0, 0x3f5db3d7
	v_pk_fma_f32 v[50:51], v[50:51], 0.5, v[70:71] op_sel_hi:[1,0,1] neg_lo:[1,0,0] neg_hi:[1,0,0]
	v_pk_mul_f32 v[56:57], v[56:57], s[0:1] op_sel_hi:[1,0]
	v_pk_add_f32 v[74:75], v[76:77], v[80:81] neg_lo:[0,1] neg_hi:[0,1]
	v_pk_add_f32 v[70:71], v[50:51], v[56:57] op_sel:[0,1] op_sel_hi:[1,0]
	v_pk_add_f32 v[50:51], v[50:51], v[56:57] op_sel:[0,1] op_sel_hi:[1,0] neg_lo:[0,1] neg_hi:[0,1]
	v_pk_add_f32 v[56:57], v[76:77], v[80:81]
	v_pk_mul_f32 v[74:75], v[74:75], s[0:1] op_sel_hi:[1,0]
	v_pk_fma_f32 v[56:57], v[56:57], 0.5, v[72:73] op_sel_hi:[1,0,1] neg_lo:[1,0,0] neg_hi:[1,0,0]
	v_pk_add_f32 v[76:77], v[72:73], v[76:77]
	v_pk_add_f32 v[72:73], v[56:57], v[74:75] op_sel:[0,1] op_sel_hi:[1,0]
	v_pk_add_f32 v[56:57], v[56:57], v[74:75] op_sel:[0,1] op_sel_hi:[1,0] neg_lo:[0,1] neg_hi:[0,1]
	s_waitcnt lgkmcnt(0)
	v_pk_add_f32 v[74:75], v[62:63], v[66:67]
	v_pk_add_f32 v[78:79], v[62:63], v[66:67] neg_lo:[0,1] neg_hi:[0,1]
	v_pk_add_f32 v[62:63], v[58:59], v[62:63]
	v_pk_add_f32 v[80:81], v[76:77], v[80:81]
	;; [unrolled: 1-line block ×3, first 2 shown]
	v_pk_fma_f32 v[58:59], v[74:75], 0.5, v[58:59] op_sel_hi:[1,0,1] neg_lo:[1,0,0] neg_hi:[1,0,0]
	v_pk_mul_f32 v[62:63], v[78:79], s[0:1] op_sel_hi:[1,0]
	v_pk_add_f32 v[66:67], v[64:65], v[68:69] neg_lo:[0,1] neg_hi:[0,1]
	v_pk_add_f32 v[74:75], v[58:59], v[62:63] op_sel:[0,1] op_sel_hi:[1,0]
	v_pk_add_f32 v[62:63], v[58:59], v[62:63] op_sel:[0,1] op_sel_hi:[1,0] neg_lo:[0,1] neg_hi:[0,1]
	v_pk_add_f32 v[58:59], v[64:65], v[68:69]
	v_pk_add_f32 v[64:65], v[60:61], v[64:65]
	v_pk_fma_f32 v[58:59], v[58:59], 0.5, v[60:61] op_sel_hi:[1,0,1] neg_lo:[1,0,0] neg_hi:[1,0,0]
	v_pk_mul_f32 v[60:61], v[66:67], s[0:1] op_sel_hi:[1,0]
	v_pk_add_f32 v[138:139], v[64:65], v[68:69]
	v_pk_add_f32 v[78:79], v[58:59], v[60:61] op_sel:[0,1] op_sel_hi:[1,0]
	v_pk_add_f32 v[64:65], v[58:59], v[60:61] op_sel:[0,1] op_sel_hi:[1,0] neg_lo:[0,1] neg_hi:[0,1]
	v_mov_b32_e32 v58, v45
	v_mov_b32_e32 v59, v44
	v_pk_add_f32 v[60:61], v[48:49], v[44:45]
	v_pk_add_f32 v[44:45], v[48:49], v[44:45] neg_lo:[0,1] neg_hi:[0,1]
	v_pk_add_f32 v[48:49], v[54:55], v[52:53]
	s_nop 0
	v_pk_add_f32 v[140:141], v[58:59], v[48:49]
	v_pk_mul_f32 v[48:49], v[60:61], 0.5 op_sel_hi:[1,0]
	; wave barrier
	s_nop 0
	v_pk_add_f32 v[48:49], v[52:53], v[48:49] op_sel:[0,1] op_sel_hi:[1,0] neg_lo:[0,1] neg_hi:[0,1]
	s_nop 0
	v_pk_fma_f32 v[136:137], v[44:45], s[0:1], v[48:49] op_sel_hi:[1,0,1]
	v_pk_fma_f32 v[54:55], v[44:45], s[0:1], v[48:49] op_sel_hi:[1,0,1] neg_lo:[1,0,0] neg_hi:[1,0,0]
	v_mov_b32_e32 v44, v50
	v_mov_b32_e32 v45, v71
	ds_write2_b64 v97, v[134:135], v[44:45] offset1:1
	v_mov_b32_e32 v44, v70
	v_mov_b32_e32 v45, v51
	ds_write_b64 v97, v[44:45] offset:16
	v_mov_b32_e32 v44, v56
	v_mov_b32_e32 v45, v73
	ds_write2_b64 v88, v[80:81], v[44:45] offset1:1
	v_mov_b32_e32 v44, v72
	v_mov_b32_e32 v45, v57
	ds_write_b64 v88, v[44:45] offset:16
	;; [unrolled: 6-line block ×4, first 2 shown]
	s_and_saveexec_b64 s[0:1], s[6:7]
	s_cbranch_execz .LBB0_17
; %bb.16:
	v_lshlrev_b32_e32 v12, 3, v236
	v_mov_b32_e32 v44, v54
	v_mov_b32_e32 v45, v137
	ds_write2_b64 v12, v[140:141], v[44:45] offset1:1
	v_mov_b32_e32 v44, v136
	v_mov_b32_e32 v45, v55
	ds_write_b64 v12, v[44:45] offset:16
.LBB0_17:
	s_or_b64 exec, exec, s[0:1]
	s_waitcnt lgkmcnt(0)
	; wave barrier
	s_waitcnt lgkmcnt(0)
	s_and_saveexec_b64 s[0:1], s[4:5]
	s_xor_b64 s[0:1], exec, s[0:1]
	s_or_saveexec_b64 s[0:1], s[0:1]
	v_mov_b32_e32 v12, v115
	s_xor_b64 exec, exec, s[0:1]
	s_cbranch_execz .LBB0_19
; %bb.18:
	v_add_u32_e32 v44, 0x400, v82
	ds_read2_b64 v[48:51], v82 offset1:42
	ds_read2_b64 v[84:87], v82 offset0:84 offset1:126
	ds_read2_b64 v[56:59], v82 offset0:168 offset1:210
	ds_read2_b64 v[60:63], v44 offset0:124 offset1:166
	v_add_u32_e32 v52, 0xc00, v82
	v_add_u32_e32 v44, 0x1000, v82
	v_add_u32_e32 v68, 0x800, v82
	ds_read2_b64 v[44:47], v44 offset0:76 offset1:118
	ds_read2_b64 v[52:55], v52 offset0:120 offset1:162
	ds_read2_b64 v[64:67], v68 offset0:164 offset1:206
	ds_read2_b64 v[140:143], v68 offset0:80 offset1:122
	ds_read_b64 v[132:133], v82 offset:5376
	s_waitcnt lgkmcnt(4)
	v_mov_b32_e32 v136, v44
	s_waitcnt lgkmcnt(3)
	v_mov_b32_e32 v137, v55
	;; [unrolled: 2-line block ×3, first 2 shown]
	v_mov_b32_e32 v79, v65
	s_waitcnt lgkmcnt(1)
	v_mov_b32_e32 v74, v140
	v_mov_b32_e32 v75, v63
	;; [unrolled: 1-line block ×11, first 2 shown]
	v_mov_b64_e32 v[134:135], v[48:49]
	v_mov_b64_e32 v[140:141], v[52:53]
	;; [unrolled: 1-line block ×5, first 2 shown]
.LBB0_19:
	s_or_b64 exec, exec, s[0:1]
	v_mov_b32_e32 v44, v116
	v_mov_b32_e32 v45, v116
	;; [unrolled: 1-line block ×21, first 2 shown]
	s_waitcnt lgkmcnt(0)
	; wave barrier
	s_waitcnt lgkmcnt(0)
	s_and_saveexec_b64 s[0:1], s[2:3]
	s_cbranch_execz .LBB0_21
; %bb.20:
	v_pk_mul_f32 v[86:87], v[42:43], v[132:133] op_sel:[0,1]
	v_pk_mul_f32 v[144:145], v[40:41], v[46:47] op_sel:[0,1]
	;; [unrolled: 1-line block ×7, first 2 shown]
	v_pk_fma_f32 v[172:173], v[42:43], v[132:133], v[86:87] op_sel:[0,0,1] op_sel_hi:[1,1,0]
	v_pk_fma_f32 v[42:43], v[42:43], v[132:133], v[86:87] op_sel:[0,0,1] op_sel_hi:[1,0,0] neg_lo:[1,0,0] neg_hi:[1,0,0]
	v_pk_fma_f32 v[86:87], v[40:41], v[46:47], v[144:145] op_sel:[0,0,1] op_sel_hi:[1,1,0]
	v_pk_fma_f32 v[40:41], v[40:41], v[46:47], v[144:145] op_sel:[0,0,1] op_sel_hi:[1,0,0] neg_lo:[1,0,0] neg_hi:[1,0,0]
	;; [unrolled: 2-line block ×6, first 2 shown]
	v_pk_mul_f32 v[170:171], v[28:29], v[138:139] op_sel:[0,1]
	v_mov_b32_e32 v55, v11
	v_mov_b32_e32 v137, v9
	v_pk_fma_f32 v[8:9], v[30:31], v[64:65], v[166:167] op_sel:[0,0,1] op_sel_hi:[1,1,0]
	v_pk_fma_f32 v[10:11], v[30:31], v[64:65], v[166:167] op_sel:[0,0,1] op_sel_hi:[1,0,0] neg_lo:[1,0,0] neg_hi:[1,0,0]
	v_pk_mul_f32 v[168:169], v[18:19], v[62:63] op_sel:[0,1]
	v_mov_b32_e32 v9, v11
	v_pk_fma_f32 v[64:65], v[28:29], v[138:139], v[170:171] op_sel:[0,0,1] op_sel_hi:[1,1,0]
	v_pk_fma_f32 v[10:11], v[28:29], v[138:139], v[170:171] op_sel:[0,0,1] op_sel_hi:[1,0,0] neg_lo:[1,0,0] neg_hi:[1,0,0]
	v_pk_mul_f32 v[146:147], v[24:25], v[80:81] op_sel:[0,1]
	;; [unrolled: 4-line block ×8, first 2 shown]
	v_mov_b32_e32 v57, v3
	v_pk_fma_f32 v[2:3], v[4:5], v[50:51], v[84:85] op_sel:[0,0,1] op_sel_hi:[1,1,0]
	v_pk_fma_f32 v[4:5], v[4:5], v[50:51], v[84:85] op_sel:[0,0,1] op_sel_hi:[1,0,0] neg_lo:[1,0,0] neg_hi:[1,0,0]
	v_mov_b32_e32 v173, v43
	v_mov_b32_e32 v3, v5
	v_pk_fma_f32 v[4:5], v[6:7], v[70:71], v[142:143] op_sel:[0,0,1] op_sel_hi:[1,1,0]
	v_pk_fma_f32 v[6:7], v[6:7], v[70:71], v[142:143] op_sel:[0,0,1] op_sel_hi:[1,0,0] neg_lo:[1,0,0] neg_hi:[1,0,0]
	v_mov_b32_e32 v87, v41
	v_mov_b32_e32 v5, v7
	v_pk_add_f32 v[6:7], v[134:135], v[2:3]
	v_pk_add_f32 v[192:193], v[2:3], v[172:173] neg_lo:[0,1] neg_hi:[0,1]
	v_pk_add_f32 v[6:7], v[4:5], v[6:7]
	s_mov_b32 s30, 0xbeb8f4ab
	v_pk_add_f32 v[6:7], v[10:11], v[6:7]
	v_pk_add_f32 v[180:181], v[172:173], v[2:3]
	;; [unrolled: 1-line block ×3, first 2 shown]
	v_pk_add_f32 v[182:183], v[4:5], v[86:87] neg_lo:[0,1] neg_hi:[0,1]
	s_mov_b32 s16, 0x3f6eb680
	v_pk_mul_f32 v[2:3], v[192:193], s[30:31] op_sel_hi:[1,0]
	s_mov_b32 s42, 0xbf2c7751
	v_mov_b32_e32 v47, v39
	v_pk_add_f32 v[16:17], v[24:25], v[6:7]
	v_pk_add_f32 v[174:175], v[86:87], v[4:5]
	v_pk_fma_f32 v[4:5], v[180:181], s[16:17], v[2:3] op_sel:[0,0,1] op_sel_hi:[1,0,0]
	v_pk_fma_f32 v[2:3], v[180:181], s[16:17], v[2:3] op_sel:[0,0,1] op_sel_hi:[1,0,0] neg_lo:[0,0,1] neg_hi:[0,0,1]
	s_mov_b32 s14, 0x3f3d2fb0
	v_pk_mul_f32 v[6:7], v[182:183], s[42:43] op_sel_hi:[1,0]
	v_pk_add_f32 v[164:165], v[10:11], v[46:47] neg_lo:[0,1] neg_hi:[0,1]
	v_pk_add_f32 v[162:163], v[46:47], v[10:11]
	v_accvgpr_write_b32 a27, v5
	v_mov_b32_e32 v5, v3
	v_pk_fma_f32 v[10:11], v[174:175], s[14:15], v[6:7] op_sel:[0,0,1] op_sel_hi:[1,0,0]
	v_pk_fma_f32 v[6:7], v[174:175], s[14:15], v[6:7] op_sel:[0,0,1] op_sel_hi:[1,0,0] neg_lo:[0,0,1] neg_hi:[0,0,1]
	v_pk_add_f32 v[4:5], v[134:135], v[4:5]
	v_accvgpr_write_b32 a29, v11
	v_mov_b32_e32 v11, v7
	s_mov_b32 s48, 0xbf65296c
	v_mov_b32_e32 v133, v37
	v_pk_add_f32 v[4:5], v[10:11], v[4:5]
	s_mov_b32 s4, 0x3ee437d1
	v_pk_mul_f32 v[10:11], v[164:165], s[48:49] op_sel_hi:[1,0]
	v_pk_add_f32 v[160:161], v[18:19], v[132:133] neg_lo:[0,1] neg_hi:[0,1]
	v_pk_add_f32 v[158:159], v[132:133], v[18:19]
	v_pk_fma_f32 v[18:19], v[162:163], s[4:5], v[10:11] op_sel:[0,0,1] op_sel_hi:[1,0,0]
	v_pk_fma_f32 v[10:11], v[162:163], s[4:5], v[10:11] op_sel:[0,0,1] op_sel_hi:[1,0,0] neg_lo:[0,0,1] neg_hi:[0,0,1]
	v_accvgpr_write_b32 a31, v19
	v_mov_b32_e32 v19, v11
	s_mov_b32 s38, 0xbf7ee86f
	v_pk_add_f32 v[4:5], v[18:19], v[4:5]
	s_mov_b32 s2, 0x3dbcf732
	v_pk_mul_f32 v[18:19], v[160:161], s[38:39] op_sel_hi:[1,0]
	v_pk_add_f32 v[156:157], v[24:25], v[54:55] neg_lo:[0,1] neg_hi:[0,1]
	v_pk_add_f32 v[154:155], v[54:55], v[24:25]
	v_pk_fma_f32 v[24:25], v[158:159], s[2:3], v[18:19] op_sel:[0,0,1] op_sel_hi:[1,0,0]
	v_pk_fma_f32 v[18:19], v[158:159], s[2:3], v[18:19] op_sel:[0,0,1] op_sel_hi:[1,0,0] neg_lo:[0,0,1] neg_hi:[0,0,1]
	v_accvgpr_write_b32 a33, v25
	v_mov_b32_e32 v25, v19
	s_mov_b32 s20, 0xbf763a35
	v_pk_add_f32 v[4:5], v[24:25], v[4:5]
	s_mov_b32 s18, 0xbe8c1d8e
	v_pk_mul_f32 v[24:25], v[156:157], s[20:21] op_sel_hi:[1,0]
	v_add_lshl_u32 v83, v150, v83, 3
	v_pk_fma_f32 v[30:31], v[154:155], s[18:19], v[24:25] op_sel:[0,0,1] op_sel_hi:[1,0,0]
	v_pk_fma_f32 v[26:27], v[154:155], s[18:19], v[24:25] op_sel:[0,0,1] op_sel_hi:[1,0,0] neg_lo:[0,0,1] neg_hi:[0,0,1]
	v_pk_add_f32 v[152:153], v[0:1], v[136:137] neg_lo:[0,1] neg_hi:[0,1]
	v_pk_add_f32 v[150:151], v[136:137], v[0:1]
	v_mov_b32_e32 v24, v30
	v_mov_b32_e32 v25, v27
	s_mov_b32 s24, 0xbf4c4adb
	v_pk_add_f32 v[0:1], v[0:1], v[16:17]
	v_pk_add_f32 v[4:5], v[24:25], v[4:5]
	s_mov_b32 s22, 0xbf1a4643
	v_pk_mul_f32 v[24:25], v[152:153], s[24:25] op_sel_hi:[1,0]
	v_pk_add_f32 v[0:1], v[56:57], v[0:1]
	v_accvgpr_write_b32 a35, v31
	v_pk_fma_f32 v[36:37], v[150:151], s[22:23], v[24:25] op_sel:[0,0,1] op_sel_hi:[1,0,0]
	v_pk_fma_f32 v[30:31], v[150:151], s[22:23], v[24:25] op_sel:[0,0,1] op_sel_hi:[1,0,0] neg_lo:[0,0,1] neg_hi:[0,0,1]
	v_pk_add_f32 v[0:1], v[28:29], v[0:1]
	v_pk_add_f32 v[148:149], v[56:57], v[8:9] neg_lo:[0,1] neg_hi:[0,1]
	v_mov_b32_e32 v24, v36
	v_mov_b32_e32 v25, v31
	s_mov_b32 s28, 0xbf06c442
	v_pk_add_f32 v[0:1], v[64:65], v[0:1]
	v_pk_add_f32 v[146:147], v[8:9], v[56:57]
	;; [unrolled: 1-line block ×3, first 2 shown]
	s_mov_b32 s26, 0xbf59a7d5
	v_pk_mul_f32 v[24:25], v[148:149], s[28:29] op_sel_hi:[1,0]
	v_pk_add_f32 v[0:1], v[8:9], v[0:1]
	v_accvgpr_write_b32 a37, v37
	v_pk_fma_f32 v[36:37], v[146:147], s[26:27], v[24:25] op_sel:[0,0,1] op_sel_hi:[1,0,0]
	v_pk_fma_f32 v[38:39], v[146:147], s[26:27], v[24:25] op_sel:[0,0,1] op_sel_hi:[1,0,0] neg_lo:[0,0,1] neg_hi:[0,0,1]
	v_pk_add_f32 v[0:1], v[136:137], v[0:1]
	v_pk_add_f32 v[144:145], v[28:29], v[64:65] neg_lo:[0,1] neg_hi:[0,1]
	v_mov_b32_e32 v24, v36
	v_mov_b32_e32 v25, v39
	v_pk_add_f32 v[0:1], v[54:55], v[0:1]
	v_pk_add_f32 v[142:143], v[64:65], v[28:29]
	;; [unrolled: 1-line block ×3, first 2 shown]
	s_mov_b32 s34, 0xbf7ba420
	v_pk_mul_f32 v[24:25], v[144:145], s[36:37] op_sel_hi:[1,0]
	v_pk_add_f32 v[0:1], v[132:133], v[0:1]
	v_accvgpr_write_b32 a39, v37
	v_pk_fma_f32 v[36:37], v[142:143], s[34:35], v[24:25] op_sel:[0,0,1] op_sel_hi:[1,0,0]
	v_pk_fma_f32 v[42:43], v[142:143], s[34:35], v[24:25] op_sel:[0,0,1] op_sel_hi:[1,0,0] neg_lo:[0,0,1] neg_hi:[0,0,1]
	v_pk_add_f32 v[0:1], v[46:47], v[0:1]
	v_mov_b32_e32 v24, v36
	v_mov_b32_e32 v25, v43
	v_pk_add_f32 v[0:1], v[86:87], v[0:1]
	v_pk_add_f32 v[4:5], v[24:25], v[4:5]
	;; [unrolled: 1-line block ×3, first 2 shown]
	ds_write2_b64 v83, v[0:1], v[4:5] offset1:3
	v_pk_mul_f32 v[0:1], v[192:193], s[42:43] op_sel_hi:[1,0]
	s_mov_b32 s52, 0x3f06c442
	v_pk_fma_f32 v[4:5], v[180:181], s[14:15], v[0:1] op_sel:[0,0,1] op_sel_hi:[1,0,0]
	v_pk_fma_f32 v[50:51], v[180:181], s[14:15], v[0:1] op_sel:[0,0,1] op_sel_hi:[1,0,0] neg_lo:[0,0,1] neg_hi:[0,0,1]
	v_mov_b32_e32 v0, v4
	v_mov_b32_e32 v3, v5
	v_pk_mul_f32 v[4:5], v[182:183], s[38:39] op_sel_hi:[1,0]
	v_mov_b32_e32 v1, v51
	v_pk_fma_f32 v[8:9], v[174:175], s[2:3], v[4:5] op_sel:[0,0,1] op_sel_hi:[1,0,0]
	v_pk_fma_f32 v[56:57], v[174:175], s[2:3], v[4:5] op_sel:[0,0,1] op_sel_hi:[1,0,0] neg_lo:[0,0,1] neg_hi:[0,0,1]
	v_pk_add_f32 v[0:1], v[134:135], v[0:1]
	v_mov_b32_e32 v4, v8
	v_mov_b32_e32 v5, v57
	v_pk_add_f32 v[0:1], v[4:5], v[0:1]
	v_pk_mul_f32 v[4:5], v[164:165], s[24:25] op_sel_hi:[1,0]
	v_mov_b32_e32 v7, v9
	v_pk_fma_f32 v[8:9], v[162:163], s[22:23], v[4:5] op_sel:[0,0,1] op_sel_hi:[1,0,0]
	v_pk_fma_f32 v[64:65], v[162:163], s[22:23], v[4:5] op_sel:[0,0,1] op_sel_hi:[1,0,0] neg_lo:[0,0,1] neg_hi:[0,0,1]
	v_mov_b32_e32 v4, v8
	v_mov_b32_e32 v5, v65
	v_pk_add_f32 v[0:1], v[4:5], v[0:1]
	v_pk_mul_f32 v[4:5], v[160:161], s[36:37] op_sel_hi:[1,0]
	v_mov_b32_e32 v11, v9
	v_pk_fma_f32 v[8:9], v[158:159], s[34:35], v[4:5] op_sel:[0,0,1] op_sel_hi:[1,0,0]
	v_pk_fma_f32 v[72:73], v[158:159], s[34:35], v[4:5] op_sel:[0,0,1] op_sel_hi:[1,0,0] neg_lo:[0,0,1] neg_hi:[0,0,1]
	;; [unrolled: 7-line block ×3, first 2 shown]
	v_mov_b32_e32 v4, v8
	v_mov_b32_e32 v5, v77
	s_mov_b32 s50, 0x3f763a35
	v_pk_add_f32 v[0:1], v[4:5], v[0:1]
	v_pk_mul_f32 v[4:5], v[152:153], s[50:51] op_sel_hi:[1,0]
	v_mov_b32_e32 v27, v9
	v_pk_fma_f32 v[8:9], v[150:151], s[18:19], v[4:5] op_sel:[0,0,1] op_sel_hi:[1,0,0]
	v_pk_fma_f32 v[80:81], v[150:151], s[18:19], v[4:5] op_sel:[0,0,1] op_sel_hi:[1,0,0] neg_lo:[0,0,1] neg_hi:[0,0,1]
	v_mov_b32_e32 v4, v8
	v_mov_b32_e32 v5, v81
	s_mov_b32 s40, 0x3f65296c
	v_pk_add_f32 v[0:1], v[4:5], v[0:1]
	v_pk_mul_f32 v[4:5], v[148:149], s[40:41] op_sel_hi:[1,0]
	v_mov_b32_e32 v31, v9
	v_pk_fma_f32 v[8:9], v[146:147], s[4:5], v[4:5] op_sel:[0,0,1] op_sel_hi:[1,0,0]
	v_pk_fma_f32 v[136:137], v[146:147], s[4:5], v[4:5] op_sel:[0,0,1] op_sel_hi:[1,0,0] neg_lo:[0,0,1] neg_hi:[0,0,1]
	;; [unrolled: 8-line block ×3, first 2 shown]
	v_mov_b32_e32 v4, v8
	v_mov_b32_e32 v5, v141
	v_pk_add_f32 v[0:1], v[4:5], v[0:1]
	v_pk_mul_f32 v[4:5], v[192:193], s[48:49] op_sel_hi:[1,0]
	v_mov_b32_e32 v43, v9
	v_pk_fma_f32 v[8:9], v[180:181], s[4:5], v[4:5] op_sel:[0,0,1] op_sel_hi:[1,0,0]
	v_pk_fma_f32 v[168:169], v[180:181], s[4:5], v[4:5] op_sel:[0,0,1] op_sel_hi:[1,0,0] neg_lo:[0,0,1] neg_hi:[0,0,1]
	v_mov_b32_e32 v4, v8
	v_mov_b32_e32 v51, v9
	v_pk_mul_f32 v[8:9], v[182:183], s[24:25] op_sel_hi:[1,0]
	v_mov_b32_e32 v5, v169
	v_pk_fma_f32 v[16:17], v[174:175], s[22:23], v[8:9] op_sel:[0,0,1] op_sel_hi:[1,0,0]
	v_pk_fma_f32 v[172:173], v[174:175], s[22:23], v[8:9] op_sel:[0,0,1] op_sel_hi:[1,0,0] neg_lo:[0,0,1] neg_hi:[0,0,1]
	v_pk_add_f32 v[4:5], v[134:135], v[4:5]
	v_mov_b32_e32 v8, v16
	v_mov_b32_e32 v9, v173
	s_mov_b32 s46, 0x3e3c28d5
	v_pk_add_f32 v[4:5], v[8:9], v[4:5]
	v_pk_mul_f32 v[8:9], v[164:165], s[46:47] op_sel_hi:[1,0]
	v_mov_b32_e32 v57, v17
	v_pk_fma_f32 v[16:17], v[162:163], s[34:35], v[8:9] op_sel:[0,0,1] op_sel_hi:[1,0,0]
	v_pk_fma_f32 v[178:179], v[162:163], s[34:35], v[8:9] op_sel:[0,0,1] op_sel_hi:[1,0,0] neg_lo:[0,0,1] neg_hi:[0,0,1]
	v_mov_b32_e32 v8, v16
	v_mov_b32_e32 v9, v179
	v_pk_mul_f32 v[84:85], v[160:161], s[50:51] op_sel_hi:[1,0]
	v_pk_add_f32 v[4:5], v[8:9], v[4:5]
	v_pk_fma_f32 v[8:9], v[158:159], s[18:19], v[84:85] op_sel:[0,0,1] op_sel_hi:[1,0,0]
	v_pk_fma_f32 v[186:187], v[158:159], s[18:19], v[84:85] op_sel:[0,0,1] op_sel_hi:[1,0,0] neg_lo:[0,0,1] neg_hi:[0,0,1]
	s_mov_b32 s46, 0x3f2c7751
	v_mov_b32_e32 v84, v8
	v_mov_b32_e32 v85, v187
	v_pk_mul_f32 v[86:87], v[156:157], s[46:47] op_sel_hi:[1,0]
	v_pk_add_f32 v[84:85], v[84:85], v[4:5]
	v_pk_fma_f32 v[4:5], v[154:155], s[14:15], v[86:87] op_sel:[0,0,1] op_sel_hi:[1,0,0]
	v_pk_fma_f32 v[190:191], v[154:155], s[14:15], v[86:87] op_sel:[0,0,1] op_sel_hi:[1,0,0] neg_lo:[0,0,1] neg_hi:[0,0,1]
	v_mov_b32_e32 v86, v4
	v_mov_b32_e32 v87, v191
	v_pk_add_f32 v[84:85], v[86:87], v[84:85]
	v_pk_mul_f32 v[86:87], v[152:153], s[30:31] op_sel_hi:[1,0]
	v_mov_b32_e32 v77, v5
	v_pk_fma_f32 v[4:5], v[150:151], s[16:17], v[86:87] op_sel:[0,0,1] op_sel_hi:[1,0,0]
	v_pk_fma_f32 v[196:197], v[150:151], s[16:17], v[86:87] op_sel:[0,0,1] op_sel_hi:[1,0,0] neg_lo:[0,0,1] neg_hi:[0,0,1]
	v_mov_b32_e32 v86, v4
	v_mov_b32_e32 v87, v197
	v_pk_add_f32 v[84:85], v[86:87], v[84:85]
	v_pk_mul_f32 v[86:87], v[148:149], s[38:39] op_sel_hi:[1,0]
	v_mov_b32_e32 v81, v5
	;; [unrolled: 7-line block ×3, first 2 shown]
	v_pk_fma_f32 v[4:5], v[142:143], s[26:27], v[86:87] op_sel:[0,0,1] op_sel_hi:[1,0,0]
	v_pk_fma_f32 v[204:205], v[142:143], s[26:27], v[86:87] op_sel:[0,0,1] op_sel_hi:[1,0,0] neg_lo:[0,0,1] neg_hi:[0,0,1]
	v_mov_b32_e32 v86, v4
	v_mov_b32_e32 v87, v205
	v_pk_add_f32 v[84:85], v[86:87], v[84:85]
	ds_write2_b64 v83, v[0:1], v[84:85] offset0:6 offset1:9
	v_pk_mul_f32 v[0:1], v[192:193], s[38:39] op_sel_hi:[1,0]
	v_mov_b32_e32 v141, v5
	v_pk_fma_f32 v[4:5], v[180:181], s[2:3], v[0:1] op_sel:[0,0,1] op_sel_hi:[1,0,0]
	v_pk_fma_f32 v[208:209], v[180:181], s[2:3], v[0:1] op_sel:[0,0,1] op_sel_hi:[1,0,0] neg_lo:[0,0,1] neg_hi:[0,0,1]
	v_pk_mul_f32 v[84:85], v[182:183], s[36:37] op_sel_hi:[1,0]
	v_mov_b32_e32 v0, v4
	v_mov_b32_e32 v169, v5
	;; [unrolled: 1-line block ×3, first 2 shown]
	v_pk_fma_f32 v[4:5], v[174:175], s[34:35], v[84:85] op_sel:[0,0,1] op_sel_hi:[1,0,0]
	v_pk_fma_f32 v[212:213], v[174:175], s[34:35], v[84:85] op_sel:[0,0,1] op_sel_hi:[1,0,0] neg_lo:[0,0,1] neg_hi:[0,0,1]
	v_pk_add_f32 v[0:1], v[134:135], v[0:1]
	v_mov_b32_e32 v84, v4
	v_mov_b32_e32 v85, v213
	v_pk_add_f32 v[0:1], v[84:85], v[0:1]
	v_pk_mul_f32 v[84:85], v[164:165], s[50:51] op_sel_hi:[1,0]
	v_mov_b32_e32 v173, v5
	v_pk_fma_f32 v[4:5], v[162:163], s[18:19], v[84:85] op_sel:[0,0,1] op_sel_hi:[1,0,0]
	v_pk_fma_f32 v[216:217], v[162:163], s[18:19], v[84:85] op_sel:[0,0,1] op_sel_hi:[1,0,0] neg_lo:[0,0,1] neg_hi:[0,0,1]
	v_mov_b32_e32 v84, v4
	v_mov_b32_e32 v85, v217
	v_pk_add_f32 v[0:1], v[84:85], v[0:1]
	v_pk_mul_f32 v[84:85], v[160:161], s[44:45] op_sel_hi:[1,0]
	s_mov_b32 s54, 0x3f4c4adb
	v_pk_fma_f32 v[138:139], v[158:159], s[16:17], v[84:85] op_sel:[0,0,1] op_sel_hi:[1,0,0]
	v_pk_fma_f32 v[220:221], v[158:159], s[16:17], v[84:85] op_sel:[0,0,1] op_sel_hi:[1,0,0] neg_lo:[0,0,1] neg_hi:[0,0,1]
	v_mov_b32_e32 v84, v138
	v_mov_b32_e32 v85, v221
	v_pk_add_f32 v[0:1], v[84:85], v[0:1]
	v_pk_mul_f32 v[84:85], v[156:157], s[48:49] op_sel_hi:[1,0]
	v_accvgpr_write_b32 a20, v244
	v_pk_fma_f32 v[132:133], v[154:155], s[4:5], v[84:85] op_sel:[0,0,1] op_sel_hi:[1,0,0]
	v_pk_fma_f32 v[224:225], v[154:155], s[4:5], v[84:85] op_sel:[0,0,1] op_sel_hi:[1,0,0] neg_lo:[0,0,1] neg_hi:[0,0,1]
	v_mov_b32_e32 v84, v132
	v_mov_b32_e32 v85, v225
	v_pk_add_f32 v[0:1], v[84:85], v[0:1]
	v_pk_mul_f32 v[84:85], v[152:153], s[28:29] op_sel_hi:[1,0]
	v_pk_mul_f32 v[86:87], v[164:165], s[46:47] op_sel_hi:[1,0]
	v_pk_fma_f32 v[78:79], v[150:151], s[26:27], v[84:85] op_sel:[0,0,1] op_sel_hi:[1,0,0]
	v_pk_fma_f32 v[228:229], v[150:151], s[26:27], v[84:85] op_sel:[0,0,1] op_sel_hi:[1,0,0] neg_lo:[0,0,1] neg_hi:[0,0,1]
	v_mov_b32_e32 v84, v78
	v_mov_b32_e32 v85, v229
	v_pk_add_f32 v[0:1], v[84:85], v[0:1]
	v_pk_mul_f32 v[84:85], v[148:149], s[54:55] op_sel_hi:[1,0]
	v_accvgpr_write_b32 a21, v245
	v_pk_fma_f32 v[74:75], v[146:147], s[22:23], v[84:85] op_sel:[0,0,1] op_sel_hi:[1,0,0]
	v_pk_fma_f32 v[232:233], v[146:147], s[22:23], v[84:85] op_sel:[0,0,1] op_sel_hi:[1,0,0] neg_lo:[0,0,1] neg_hi:[0,0,1]
	v_mov_b32_e32 v84, v74
	v_mov_b32_e32 v85, v233
	v_pk_add_f32 v[0:1], v[84:85], v[0:1]
	v_pk_mul_f32 v[84:85], v[144:145], s[46:47] op_sel_hi:[1,0]
	v_accvgpr_write_b32 a24, v248
	v_pk_fma_f32 v[70:71], v[142:143], s[14:15], v[84:85] op_sel:[0,0,1] op_sel_hi:[1,0,0]
	v_pk_fma_f32 v[236:237], v[142:143], s[14:15], v[84:85] op_sel:[0,0,1] op_sel_hi:[1,0,0] neg_lo:[0,0,1] neg_hi:[0,0,1]
	v_mov_b32_e32 v84, v70
	v_mov_b32_e32 v85, v237
	v_pk_add_f32 v[188:189], v[84:85], v[0:1]
	v_pk_mul_f32 v[0:1], v[192:193], s[20:21] op_sel_hi:[1,0]
	v_pk_mul_f32 v[84:85], v[182:183], s[52:53] op_sel_hi:[1,0]
	v_pk_fma_f32 v[62:63], v[180:181], s[18:19], v[0:1] op_sel:[0,0,1] op_sel_hi:[1,0,0]
	v_pk_fma_f32 v[240:241], v[180:181], s[18:19], v[0:1] op_sel:[0,0,1] op_sel_hi:[1,0,0] neg_lo:[0,0,1] neg_hi:[0,0,1]
	v_mov_b32_e32 v0, v62
	v_mov_b32_e32 v1, v241
	v_pk_fma_f32 v[54:55], v[174:175], s[26:27], v[84:85] op_sel:[0,0,1] op_sel_hi:[1,0,0]
	v_pk_fma_f32 v[244:245], v[174:175], s[26:27], v[84:85] op_sel:[0,0,1] op_sel_hi:[1,0,0] neg_lo:[0,0,1] neg_hi:[0,0,1]
	v_pk_mul_f32 v[166:167], v[160:161], s[48:49] op_sel_hi:[1,0]
	v_pk_add_f32 v[0:1], v[134:135], v[0:1]
	v_mov_b32_e32 v84, v54
	v_mov_b32_e32 v85, v245
	v_pk_fma_f32 v[46:47], v[162:163], s[14:15], v[86:87] op_sel:[0,0,1] op_sel_hi:[1,0,0]
	v_accvgpr_write_b32 a25, v249
	v_pk_fma_f32 v[248:249], v[162:163], s[14:15], v[86:87] op_sel:[0,0,1] op_sel_hi:[1,0,0] neg_lo:[0,0,1] neg_hi:[0,0,1]
	v_pk_mul_f32 v[170:171], v[156:157], s[36:37] op_sel_hi:[1,0]
	v_pk_add_f32 v[0:1], v[84:85], v[0:1]
	v_mov_b32_e32 v84, v46
	v_mov_b32_e32 v85, v249
	v_pk_fma_f32 v[40:41], v[158:159], s[4:5], v[166:167] op_sel:[0,0,1] op_sel_hi:[1,0,0]
	v_pk_fma_f32 v[252:253], v[158:159], s[4:5], v[166:167] op_sel:[0,0,1] op_sel_hi:[1,0,0] neg_lo:[0,0,1] neg_hi:[0,0,1]
	v_accvgpr_write_b32 a41, v37
	s_mov_b32 s48, 0x3f7ee86f
	v_pk_add_f32 v[0:1], v[84:85], v[0:1]
	v_mov_b32_e32 v84, v40
	v_mov_b32_e32 v85, v253
	v_pk_fma_f32 v[36:37], v[154:155], s[34:35], v[170:171] op_sel:[0,0,1] op_sel_hi:[1,0,0]
	v_pk_fma_f32 v[254:255], v[154:155], s[34:35], v[170:171] op_sel:[0,0,1] op_sel_hi:[1,0,0] neg_lo:[0,0,1] neg_hi:[0,0,1]
	v_pk_mul_f32 v[176:177], v[152:153], s[48:49] op_sel_hi:[1,0]
	v_pk_add_f32 v[84:85], v[84:85], v[0:1]
	v_mov_b32_e32 v86, v36
	v_mov_b32_e32 v87, v255
	v_pk_add_f32 v[166:167], v[86:87], v[84:85]
	v_pk_fma_f32 v[86:87], v[150:151], s[2:3], v[176:177] op_sel:[0,0,1] op_sel_hi:[1,0,0]
	v_pk_fma_f32 v[84:85], v[150:151], s[2:3], v[176:177] op_sel:[0,0,1] op_sel_hi:[1,0,0] neg_lo:[0,0,1] neg_hi:[0,0,1]
	v_pk_mul_f32 v[184:185], v[148:149], s[30:31] op_sel_hi:[1,0]
	v_mov_b32_e32 v170, v86
	v_mov_b32_e32 v171, v85
	v_accvgpr_write_b32 a18, v234
	v_pk_add_f32 v[176:177], v[170:171], v[166:167]
	v_pk_fma_f32 v[170:171], v[146:147], s[16:17], v[184:185] op_sel:[0,0,1] op_sel_hi:[1,0,0]
	v_pk_fma_f32 v[166:167], v[146:147], s[16:17], v[184:185] op_sel:[0,0,1] op_sel_hi:[1,0,0] neg_lo:[0,0,1] neg_hi:[0,0,1]
	v_accvgpr_write_b32 a19, v235
	v_pk_mul_f32 v[234:235], v[144:145], s[24:25] op_sel_hi:[1,0]
	v_mov_b32_e32 v184, v170
	v_mov_b32_e32 v185, v167
	v_pk_add_f32 v[88:89], v[184:185], v[176:177]
	v_pk_fma_f32 v[184:185], v[142:143], s[22:23], v[234:235] op_sel:[0,0,1] op_sel_hi:[1,0,0]
	v_pk_fma_f32 v[176:177], v[142:143], s[22:23], v[234:235] op_sel:[0,0,1] op_sel_hi:[1,0,0] neg_lo:[0,0,1] neg_hi:[0,0,1]
	v_mov_b32_e32 v234, v184
	v_mov_b32_e32 v235, v177
	v_pk_add_f32 v[88:89], v[234:235], v[88:89]
	ds_write2_b64 v83, v[188:189], v[88:89] offset0:12 offset1:15
	v_pk_mul_f32 v[88:89], v[192:193], s[24:25] op_sel_hi:[1,0]
	v_pk_mul_f32 v[188:189], v[182:183], s[50:51] op_sel_hi:[1,0]
	v_pk_fma_f32 v[28:29], v[180:181], s[22:23], v[88:89] op_sel:[0,0,1] op_sel_hi:[1,0,0]
	v_pk_fma_f32 v[88:89], v[180:181], s[22:23], v[88:89] op_sel:[0,0,1] op_sel_hi:[1,0,0] neg_lo:[0,0,1] neg_hi:[0,0,1]
	v_accvgpr_write_b32 a10, v102
	v_pk_mul_f32 v[234:235], v[164:165], s[30:31] op_sel_hi:[1,0]
	v_accvgpr_write_b32 a0, v90
	v_accvgpr_write_b32 a11, v103
	v_mov_b32_e32 v102, v28
	v_mov_b32_e32 v103, v89
	v_pk_fma_f32 v[24:25], v[174:175], s[18:19], v[188:189] op_sel:[0,0,1] op_sel_hi:[1,0,0]
	v_pk_fma_f32 v[188:189], v[174:175], s[18:19], v[188:189] op_sel:[0,0,1] op_sel_hi:[1,0,0] neg_lo:[0,0,1] neg_hi:[0,0,1]
	v_accvgpr_write_b32 a12, v108
	v_mov_b32_e32 v65, v17
	v_accvgpr_write_b32 a1, v91
	v_pk_mul_f32 v[90:91], v[160:161], s[28:29] op_sel_hi:[1,0]
	v_accvgpr_write_b32 a2, v92
	v_pk_add_f32 v[102:103], v[134:135], v[102:103]
	v_accvgpr_write_b32 a13, v109
	v_mov_b32_e32 v108, v24
	v_mov_b32_e32 v109, v189
	v_pk_fma_f32 v[16:17], v[162:163], s[16:17], v[234:235] op_sel:[0,0,1] op_sel_hi:[1,0,0]
	v_pk_fma_f32 v[234:235], v[162:163], s[16:17], v[234:235] op_sel:[0,0,1] op_sel_hi:[1,0,0] neg_lo:[0,0,1] neg_hi:[0,0,1]
	v_mov_b32_e32 v73, v9
	v_accvgpr_write_b32 a3, v93
	v_pk_mul_f32 v[92:93], v[156:157], s[48:49] op_sel_hi:[1,0]
	v_accvgpr_write_b32 a4, v94
	v_pk_add_f32 v[102:103], v[108:109], v[102:103]
	v_mov_b32_e32 v108, v16
	v_mov_b32_e32 v109, v235
	v_pk_fma_f32 v[8:9], v[158:159], s[26:27], v[90:91] op_sel:[0,0,1] op_sel_hi:[1,0,0]
	v_pk_fma_f32 v[90:91], v[158:159], s[26:27], v[90:91] op_sel:[0,0,1] op_sel_hi:[1,0,0] neg_lo:[0,0,1] neg_hi:[0,0,1]
	v_mov_b32_e32 v179, v5
	v_accvgpr_write_b32 a5, v95
	v_pk_mul_f32 v[94:95], v[152:153], s[42:43] op_sel_hi:[1,0]
	v_accvgpr_write_b32 a6, v98
	v_pk_add_f32 v[102:103], v[108:109], v[102:103]
	v_mov_b32_e32 v108, v8
	v_mov_b32_e32 v109, v91
	v_pk_fma_f32 v[4:5], v[154:155], s[2:3], v[92:93] op_sel:[0,0,1] op_sel_hi:[1,0,0]
	v_pk_fma_f32 v[92:93], v[154:155], s[2:3], v[92:93] op_sel:[0,0,1] op_sel_hi:[1,0,0] neg_lo:[0,0,1] neg_hi:[0,0,1]
	v_accvgpr_write_b32 a22, v246
	v_accvgpr_write_b32 a7, v99
	v_pk_mul_f32 v[98:99], v[148:149], s[36:37] op_sel_hi:[1,0]
	v_accvgpr_write_b32 a8, v100
	v_pk_add_f32 v[102:103], v[108:109], v[102:103]
	v_mov_b32_e32 v108, v4
	v_mov_b32_e32 v109, v93
	v_accvgpr_write_b32 a23, v247
	v_pk_fma_f32 v[246:247], v[150:151], s[14:15], v[94:95] op_sel:[0,0,1] op_sel_hi:[1,0,0]
	v_pk_fma_f32 v[94:95], v[150:151], s[14:15], v[94:95] op_sel:[0,0,1] op_sel_hi:[1,0,0] neg_lo:[0,0,1] neg_hi:[0,0,1]
	v_accvgpr_write_b32 a9, v101
	v_pk_mul_f32 v[100:101], v[144:145], s[40:41] op_sel_hi:[1,0]
	v_pk_add_f32 v[102:103], v[108:109], v[102:103]
	v_mov_b32_e32 v108, v246
	v_mov_b32_e32 v109, v95
	v_pk_fma_f32 v[250:251], v[146:147], s[34:35], v[98:99] op_sel:[0,0,1] op_sel_hi:[1,0,0]
	v_pk_fma_f32 v[98:99], v[146:147], s[34:35], v[98:99] op_sel:[0,0,1] op_sel_hi:[1,0,0] neg_lo:[0,0,1] neg_hi:[0,0,1]
	v_mov_b32_e32 v70, v96
	v_pk_add_f32 v[102:103], v[108:109], v[102:103]
	v_mov_b32_e32 v108, v250
	v_mov_b32_e32 v109, v99
	v_pk_fma_f32 v[96:97], v[142:143], s[4:5], v[100:101] op_sel:[0,0,1] op_sel_hi:[1,0,0]
	v_pk_fma_f32 v[100:101], v[142:143], s[4:5], v[100:101] op_sel:[0,0,1] op_sel_hi:[1,0,0] neg_lo:[0,0,1] neg_hi:[0,0,1]
	v_pk_add_f32 v[102:103], v[108:109], v[102:103]
	v_mov_b32_e32 v108, v96
	v_mov_b32_e32 v109, v101
	v_pk_add_f32 v[102:103], v[108:109], v[102:103]
	v_pk_mul_f32 v[108:109], v[192:193], s[28:29] op_sel_hi:[1,0]
	v_pk_mul_f32 v[0:1], v[182:183], s[40:41] op_sel_hi:[1,0]
	v_pk_fma_f32 v[206:207], v[180:181], s[26:27], v[108:109] op_sel:[0,0,1] op_sel_hi:[1,0,0]
	v_pk_fma_f32 v[108:109], v[180:181], s[26:27], v[108:109] op_sel:[0,0,1] op_sel_hi:[1,0,0] neg_lo:[0,0,1] neg_hi:[0,0,1]
	v_pk_mul_f32 v[122:123], v[164:165], s[38:39] op_sel_hi:[1,0]
	v_mov_b32_e32 v202, v206
	v_mov_b32_e32 v203, v109
	v_pk_fma_f32 v[214:215], v[174:175], s[4:5], v[0:1] op_sel:[0,0,1] op_sel_hi:[1,0,0]
	v_pk_fma_f32 v[0:1], v[174:175], s[4:5], v[0:1] op_sel:[0,0,1] op_sel_hi:[1,0,0] neg_lo:[0,0,1] neg_hi:[0,0,1]
	v_pk_mul_f32 v[194:195], v[160:161], s[54:55] op_sel_hi:[1,0]
	v_pk_add_f32 v[202:203], v[134:135], v[202:203]
	v_mov_b32_e32 v210, v214
	v_mov_b32_e32 v211, v1
	v_pk_fma_f32 v[218:219], v[162:163], s[2:3], v[122:123] op_sel:[0,0,1] op_sel_hi:[1,0,0]
	v_pk_fma_f32 v[122:123], v[162:163], s[2:3], v[122:123] op_sel:[0,0,1] op_sel_hi:[1,0,0] neg_lo:[0,0,1] neg_hi:[0,0,1]
	v_pk_mul_f32 v[198:199], v[156:157], s[30:31] op_sel_hi:[1,0]
	v_pk_add_f32 v[202:203], v[210:211], v[202:203]
	v_mov_b32_e32 v210, v218
	v_mov_b32_e32 v211, v123
	v_pk_fma_f32 v[222:223], v[158:159], s[22:23], v[194:195] op_sel:[0,0,1] op_sel_hi:[1,0,0]
	v_pk_fma_f32 v[194:195], v[158:159], s[22:23], v[194:195] op_sel:[0,0,1] op_sel_hi:[1,0,0] neg_lo:[0,0,1] neg_hi:[0,0,1]
	v_pk_add_f32 v[202:203], v[210:211], v[202:203]
	v_mov_b32_e32 v210, v222
	v_mov_b32_e32 v211, v195
	v_pk_fma_f32 v[226:227], v[154:155], s[16:17], v[198:199] op_sel:[0,0,1] op_sel_hi:[1,0,0]
	v_pk_fma_f32 v[198:199], v[154:155], s[16:17], v[198:199] op_sel:[0,0,1] op_sel_hi:[1,0,0] neg_lo:[0,0,1] neg_hi:[0,0,1]
	v_pk_add_f32 v[202:203], v[210:211], v[202:203]
	v_mov_b32_e32 v210, v226
	v_mov_b32_e32 v211, v199
	v_pk_add_f32 v[202:203], v[210:211], v[202:203]
	v_pk_mul_f32 v[210:211], v[152:153], s[36:37] op_sel_hi:[1,0]
	v_mov_b32_e32 v4, v106
	v_pk_fma_f32 v[238:239], v[150:151], s[34:35], v[210:211] op_sel:[0,0,1] op_sel_hi:[1,0,0]
	v_pk_fma_f32 v[210:211], v[150:151], s[34:35], v[210:211] op_sel:[0,0,1] op_sel_hi:[1,0,0] neg_lo:[0,0,1] neg_hi:[0,0,1]
	v_mov_b32_e32 v230, v238
	v_mov_b32_e32 v231, v211
	v_pk_add_f32 v[202:203], v[230:231], v[202:203]
	v_pk_mul_f32 v[230:231], v[148:149], s[46:47] op_sel_hi:[1,0]
	v_accvgpr_write_b32 a16, v112
	v_pk_fma_f32 v[106:107], v[146:147], s[14:15], v[230:231] op_sel:[0,0,1] op_sel_hi:[1,0,0]
	v_pk_fma_f32 v[230:231], v[146:147], s[14:15], v[230:231] op_sel:[0,0,1] op_sel_hi:[1,0,0] neg_lo:[0,0,1] neg_hi:[0,0,1]
	v_mov_b32_e32 v242, v106
	v_mov_b32_e32 v243, v231
	v_pk_add_f32 v[202:203], v[242:243], v[202:203]
	v_pk_mul_f32 v[242:243], v[144:145], s[20:21] op_sel_hi:[1,0]
	v_accvgpr_write_b32 a17, v113
	v_pk_fma_f32 v[112:113], v[142:143], s[18:19], v[242:243] op_sel:[0,0,1] op_sel_hi:[1,0,0]
	v_pk_fma_f32 v[242:243], v[142:143], s[18:19], v[242:243] op_sel:[0,0,1] op_sel_hi:[1,0,0] neg_lo:[0,0,1] neg_hi:[0,0,1]
	v_accvgpr_write_b32 a14, v110
	v_accvgpr_write_b32 a15, v111
	v_mov_b32_e32 v110, v112
	v_mov_b32_e32 v111, v243
	v_pk_add_f32 v[110:111], v[110:111], v[202:203]
	ds_write2_b64 v83, v[102:103], v[110:111] offset0:18 offset1:21
	v_pk_mul_f32 v[102:103], v[192:193], s[36:37] op_sel_hi:[1,0]
	v_pk_mul_f32 v[164:165], v[164:165], s[28:29] op_sel_hi:[1,0]
	v_pk_fma_f32 v[110:111], v[180:181], s[34:35], v[102:103] op_sel:[0,0,1] op_sel_hi:[1,0,0]
	v_pk_fma_f32 v[102:103], v[180:181], s[34:35], v[102:103] op_sel:[0,0,1] op_sel_hi:[1,0,0] neg_lo:[0,0,1] neg_hi:[0,0,1]
	v_pk_mul_f32 v[180:181], v[182:183], s[44:45] op_sel_hi:[1,0]
	v_pk_mul_f32 v[160:161], v[160:161], s[46:47] op_sel_hi:[1,0]
	v_pk_fma_f32 v[182:183], v[174:175], s[16:17], v[180:181] op_sel:[0,0,1] op_sel_hi:[1,0,0]
	v_pk_fma_f32 v[174:175], v[174:175], s[16:17], v[180:181] op_sel:[0,0,1] op_sel_hi:[1,0,0] neg_lo:[0,0,1] neg_hi:[0,0,1]
	v_mov_b32_e32 v180, v110
	v_mov_b32_e32 v181, v103
	v_pk_add_f32 v[180:181], v[134:135], v[180:181]
	v_mov_b32_e32 v192, v182
	v_mov_b32_e32 v193, v175
	v_pk_add_f32 v[180:181], v[192:193], v[180:181]
	v_pk_fma_f32 v[192:193], v[162:163], s[26:27], v[164:165] op_sel:[0,0,1] op_sel_hi:[1,0,0]
	v_pk_fma_f32 v[162:163], v[162:163], s[26:27], v[164:165] op_sel:[0,0,1] op_sel_hi:[1,0,0] neg_lo:[0,0,1] neg_hi:[0,0,1]
	v_mov_b32_e32 v164, v192
	v_mov_b32_e32 v165, v163
	v_pk_add_f32 v[164:165], v[164:165], v[180:181]
	v_pk_fma_f32 v[180:181], v[158:159], s[14:15], v[160:161] op_sel:[0,0,1] op_sel_hi:[1,0,0]
	v_pk_fma_f32 v[158:159], v[158:159], s[14:15], v[160:161] op_sel:[0,0,1] op_sel_hi:[1,0,0] neg_lo:[0,0,1] neg_hi:[0,0,1]
	v_mov_b32_e32 v160, v180
	v_mov_b32_e32 v161, v159
	v_pk_mul_f32 v[156:157], v[156:157], s[24:25] op_sel_hi:[1,0]
	v_pk_add_f32 v[160:161], v[160:161], v[164:165]
	v_pk_fma_f32 v[164:165], v[154:155], s[22:23], v[156:157] op_sel:[0,0,1] op_sel_hi:[1,0,0]
	v_pk_fma_f32 v[154:155], v[154:155], s[22:23], v[156:157] op_sel:[0,0,1] op_sel_hi:[1,0,0] neg_lo:[0,0,1] neg_hi:[0,0,1]
	v_mov_b32_e32 v103, v111
	v_mov_b32_e32 v156, v164
	;; [unrolled: 1-line block ×3, first 2 shown]
	v_pk_mul_f32 v[152:153], v[152:153], s[40:41] op_sel_hi:[1,0]
	v_mov_b32_e32 v175, v183
	v_pk_add_f32 v[102:103], v[134:135], v[102:103]
	v_pk_add_f32 v[156:157], v[156:157], v[160:161]
	v_pk_fma_f32 v[160:161], v[150:151], s[4:5], v[152:153] op_sel:[0,0,1] op_sel_hi:[1,0,0]
	v_pk_fma_f32 v[150:151], v[150:151], s[4:5], v[152:153] op_sel:[0,0,1] op_sel_hi:[1,0,0] neg_lo:[0,0,1] neg_hi:[0,0,1]
	v_pk_add_f32 v[102:103], v[174:175], v[102:103]
	v_mov_b32_e32 v163, v193
	v_mov_b32_e32 v152, v160
	v_mov_b32_e32 v153, v151
	v_pk_mul_f32 v[148:149], v[148:149], s[20:21] op_sel_hi:[1,0]
	v_pk_add_f32 v[102:103], v[162:163], v[102:103]
	v_mov_b32_e32 v159, v181
	v_pk_add_f32 v[152:153], v[152:153], v[156:157]
	v_pk_fma_f32 v[156:157], v[146:147], s[18:19], v[148:149] op_sel:[0,0,1] op_sel_hi:[1,0,0]
	v_pk_fma_f32 v[146:147], v[146:147], s[18:19], v[148:149] op_sel:[0,0,1] op_sel_hi:[1,0,0] neg_lo:[0,0,1] neg_hi:[0,0,1]
	v_pk_add_f32 v[102:103], v[158:159], v[102:103]
	v_mov_b32_e32 v155, v165
	v_mov_b32_e32 v148, v156
	;; [unrolled: 1-line block ×3, first 2 shown]
	v_pk_mul_f32 v[144:145], v[144:145], s[48:49] op_sel_hi:[1,0]
	v_pk_add_f32 v[102:103], v[154:155], v[102:103]
	v_mov_b32_e32 v151, v161
	v_pk_add_f32 v[148:149], v[148:149], v[152:153]
	v_pk_fma_f32 v[152:153], v[142:143], s[2:3], v[144:145] op_sel:[0,0,1] op_sel_hi:[1,0,0]
	v_pk_fma_f32 v[142:143], v[142:143], s[2:3], v[144:145] op_sel:[0,0,1] op_sel_hi:[1,0,0] neg_lo:[0,0,1] neg_hi:[0,0,1]
	v_pk_add_f32 v[102:103], v[150:151], v[102:103]
	v_mov_b32_e32 v147, v157
	v_mov_b32_e32 v144, v152
	;; [unrolled: 1-line block ×3, first 2 shown]
	v_pk_add_f32 v[102:103], v[146:147], v[102:103]
	v_mov_b32_e32 v143, v153
	v_pk_add_f32 v[144:145], v[144:145], v[148:149]
	v_pk_add_f32 v[102:103], v[142:143], v[102:103]
	v_mov_b32_e32 v109, v207
	v_mov_b32_e32 v89, v29
	ds_write2_b64 v83, v[144:145], v[102:103] offset0:24 offset1:27
	v_pk_add_f32 v[102:103], v[134:135], v[108:109]
	v_mov_b32_e32 v1, v215
	v_pk_add_f32 v[28:29], v[134:135], v[88:89]
	v_mov_b32_e32 v189, v25
	;; [unrolled: 2-line block ×9, first 2 shown]
	v_mov_b32_e32 v106, v4
	v_pk_add_f32 v[4:5], v[92:93], v[8:9]
	v_mov_b32_e32 v95, v247
	v_pk_add_f32 v[0:1], v[210:211], v[0:1]
	;; [unrolled: 2-line block ×6, first 2 shown]
	v_pk_add_f32 v[4:5], v[100:101], v[4:5]
	v_mov_b32_e32 v241, v63
	v_mov_b32_e32 v209, v169
	ds_write2_b64 v83, v[0:1], v[4:5] offset0:30 offset1:33
	v_pk_add_f32 v[0:1], v[134:135], v[240:241]
	v_mov_b32_e32 v245, v55
	v_pk_add_f32 v[4:5], v[134:135], v[208:209]
	v_mov_b32_e32 v213, v173
	;; [unrolled: 2-line block ×14, first 2 shown]
	v_pk_add_f32 v[0:1], v[176:177], v[0:1]
	v_pk_add_f32 v[4:5], v[236:237], v[4:5]
	v_mov_b32_e32 v169, v51
	v_mov_b32_e32 v51, v3
	ds_write2_b64 v83, v[0:1], v[4:5] offset0:36 offset1:39
	v_pk_add_f32 v[0:1], v[134:135], v[168:169]
	v_mov_b32_e32 v173, v57
	v_pk_add_f32 v[4:5], v[134:135], v[50:51]
	v_mov_b32_e32 v57, v7
	;; [unrolled: 2-line block ×14, first 2 shown]
	v_pk_add_f32 v[0:1], v[204:205], v[0:1]
	v_pk_add_f32 v[4:5], v[140:141], v[4:5]
	v_accvgpr_read_b32 v3, a27
	ds_write2_b64 v83, v[0:1], v[4:5] offset0:42 offset1:45
	v_pk_add_f32 v[0:1], v[134:135], v[2:3]
	v_accvgpr_read_b32 v7, a29
	v_pk_add_f32 v[0:1], v[6:7], v[0:1]
	v_accvgpr_read_b32 v11, a31
	;; [unrolled: 2-line block ×6, first 2 shown]
	v_accvgpr_read_b32 v111, a15
	v_accvgpr_read_b32 v109, a13
	;; [unrolled: 1-line block ×13, first 2 shown]
	v_pk_add_f32 v[0:1], v[38:39], v[0:1]
	v_accvgpr_read_b32 v43, a41
	v_accvgpr_read_b32 v110, a14
	;; [unrolled: 1-line block ×6, first 2 shown]
	v_mov_b32_e32 v96, v70
	v_accvgpr_read_b32 v90, a0
	v_accvgpr_read_b32 v92, a2
	;; [unrolled: 1-line block ×8, first 2 shown]
	v_pk_add_f32 v[0:1], v[42:43], v[0:1]
	ds_write_b64 v83, v[0:1] offset:384
.LBB0_21:
	s_or_b64 exec, exec, s[0:1]
	v_add_u32_e32 v7, 0x800, v82
	s_waitcnt lgkmcnt(0)
	; wave barrier
	s_waitcnt lgkmcnt(0)
	ds_read2_b64 v[8:11], v82 offset0:102 offset1:153
	ds_read2_b64 v[16:19], v82 offset0:204 offset1:255
	v_add_u32_e32 v83, 0xc00, v82
	ds_read2_b64 v[24:27], v7 offset0:50 offset1:101
	ds_read2_b64 v[28:31], v83 offset0:126 offset1:177
	v_add_u32_e32 v6, 0x1000, v82
	ds_read2_b64 v[36:39], v6 offset0:100 offset1:151
	ds_read2_b64 v[40:43], v7 offset0:152 offset1:203
	v_mov_b32_e32 v2, v13
	s_waitcnt lgkmcnt(3)
	v_pk_mul_f32 v[50:51], v[2:3], v[24:25] op_sel:[0,1] op_sel_hi:[1,0]
	v_pk_mul_f32 v[2:3], v[12:13], v[24:25] op_sel:[0,1] op_sel_hi:[1,0]
	v_pk_mul_f32 v[46:47], v[12:13], v[24:25]
	v_mov_b32_e32 v2, v3
	v_pk_fma_f32 v[24:25], v[12:13], v[24:25], v[2:3] op_sel:[0,1,0] op_sel_hi:[1,0,1] neg_lo:[0,0,1] neg_hi:[0,0,1]
	v_mov_b32_e32 v2, v15
	s_waitcnt lgkmcnt(0)
	v_pk_mul_f32 v[64:65], v[2:3], v[40:41] op_sel:[0,1] op_sel_hi:[1,0]
	v_pk_mul_f32 v[2:3], v[14:15], v[40:41] op_sel:[0,1] op_sel_hi:[1,0]
	v_pk_mul_f32 v[62:63], v[14:15], v[40:41]
	v_mov_b32_e32 v2, v3
	v_pk_fma_f32 v[40:41], v[14:15], v[40:41], v[2:3] op_sel:[0,1,0] op_sel_hi:[1,0,1] neg_lo:[0,0,1] neg_hi:[0,0,1]
	v_mul_f32_e32 v2, v33, v10
	v_fma_f32 v70, v32, v11, -v2
	v_mul_f32_e32 v2, v23, v38
	v_fma_f32 v76, v22, v39, -v2
	v_add_f32_e32 v3, v70, v76
	v_mov_b32_e32 v2, v9
	v_pk_mul_f32 v[78:79], v[32:33], v[8:9] op_sel_hi:[1,0]
	ds_read2_b64 v[54:57], v82 offset1:51
	v_pk_fma_f32 v[80:81], v[32:33], v[2:3], v[78:79] op_sel:[0,0,1] op_sel_hi:[1,1,0] neg_lo:[0,0,1] neg_hi:[0,0,1]
	v_pk_fma_f32 v[8:9], v[32:33], v[8:9], v[78:79] op_sel:[0,1,1] op_sel_hi:[1,1,0]
	v_mov_b32_e32 v2, v17
	v_mov_b32_e32 v81, v9
	v_pk_mul_f32 v[8:9], v[34:35], v[16:17] op_sel_hi:[1,0]
	v_mov_b32_e32 v63, v80
	v_pk_fma_f32 v[78:79], v[34:35], v[2:3], v[8:9] op_sel:[0,0,1] op_sel_hi:[1,1,0] neg_lo:[0,0,1] neg_hi:[0,0,1]
	v_pk_fma_f32 v[8:9], v[34:35], v[16:17], v[8:9] op_sel:[0,1,1] op_sel_hi:[1,1,0]
	v_mov_b32_e32 v2, v29
	v_mov_b32_e32 v79, v9
	v_pk_mul_f32 v[8:9], v[20:21], v[28:29] op_sel_hi:[1,0]
	v_mov_b32_e32 v47, v78
	;; [unrolled: 6-line block ×3, first 2 shown]
	v_pk_fma_f32 v[28:29], v[22:23], v[2:3], v[8:9] op_sel:[0,0,1] op_sel_hi:[1,1,0] neg_lo:[0,0,1] neg_hi:[0,0,1]
	v_pk_fma_f32 v[8:9], v[22:23], v[36:37], v[8:9] op_sel:[0,1,1] op_sel_hi:[1,1,0]
	v_mov_b32_e32 v65, v28
	v_mov_b32_e32 v29, v9
	v_pk_add_f32 v[8:9], v[80:81], v[28:29]
	v_pk_add_f32 v[36:37], v[80:81], v[28:29] neg_lo:[0,1] neg_hi:[0,1]
	v_pk_add_f32 v[84:85], v[78:79], v[16:17]
	v_pk_add_f32 v[86:87], v[78:79], v[16:17] neg_lo:[0,1] neg_hi:[0,1]
	v_pk_add_f32 v[28:29], v[62:63], v[64:65]
	v_pk_add_f32 v[16:17], v[46:47], v[50:51]
	v_mov_b32_e32 v41, v28
	v_mov_b32_e32 v25, v16
	v_pk_add_f32 v[46:47], v[40:41], v[24:25] neg_lo:[0,1] neg_hi:[0,1]
	v_mov_b32_e32 v78, v85
	v_mov_b32_e32 v79, v24
	;; [unrolled: 1-line block ×8, first 2 shown]
	s_mov_b32 s2, 0x3f08b237
	v_pk_add_f32 v[24:25], v[78:79], v[24:25]
	v_pk_add_f32 v[40:41], v[16:17], v[28:29]
	s_mov_b32 s18, 0x3d64c772
	v_pk_add_f32 v[50:51], v[50:51], v[62:63] neg_lo:[0,1] neg_hi:[0,1]
	s_mov_b32 s3, 0xbeae86e6
	v_mov_b32_e32 v62, v36
	v_mov_b32_e32 v64, v46
	;; [unrolled: 1-line block ×8, first 2 shown]
	s_mov_b32 s19, 0x3f4a47b2
	v_mov_b32_e32 v0, s12
	v_mov_b32_e32 v1, s13
	v_pk_add_f32 v[62:63], v[62:63], v[64:65] neg_lo:[0,1] neg_hi:[0,1]
	s_mov_b32 s12, s3
	s_mov_b32 s13, s2
	v_pk_add_f32 v[78:79], v[28:29], v[78:79] neg_lo:[0,1] neg_hi:[0,1]
	v_pk_add_f32 v[80:81], v[80:81], v[16:17] neg_lo:[0,1] neg_hi:[0,1]
	v_pk_add_f32 v[24:25], v[24:25], v[40:41]
	s_mov_b32 s20, s19
	s_mov_b32 s21, s18
	v_pk_mul_f32 v[50:51], v[50:51], s[2:3]
	v_pk_mul_f32 v[64:65], v[62:63], s[12:13]
	v_pk_add_f32 v[46:47], v[46:47], v[86:87]
	s_waitcnt lgkmcnt(0)
	v_pk_add_f32 v[40:41], v[54:55], v[24:25]
	v_pk_mul_f32 v[54:55], v[78:79], s[18:19]
	v_pk_mul_f32 v[78:79], v[80:81], s[20:21]
	v_mov_b32_e32 v16, v85
	v_mov_b32_e32 v28, v9
	v_pk_add_f32 v[46:47], v[46:47], v[36:37]
	s_mov_b32 s16, 0x3f955555
	v_pk_add_f32 v[36:37], v[86:87], v[36:37] neg_lo:[0,1] neg_hi:[0,1]
	s_mov_b32 s4, 0xbf5ff5aa
	v_pk_add_f32 v[8:9], v[16:17], v[28:29] neg_lo:[0,1] neg_hi:[0,1]
	s_mov_b32 s14, 0x3f3bfb3b
	v_mov_b32_e32 v16, v78
	v_mov_b32_e32 v17, v55
	;; [unrolled: 1-line block ×4, first 2 shown]
	s_mov_b32 s0, 0xbee1c552
	v_pk_fma_f32 v[24:25], v[24:25], s[16:17], v[40:41] op_sel_hi:[1,0,1] neg_lo:[1,0,0] neg_hi:[1,0,0]
	v_pk_fma_f32 v[80:81], v[80:81], s[20:21], v[54:55]
	v_pk_fma_f32 v[62:63], v[62:63], s[12:13], v[50:51]
	v_pk_fma_f32 v[16:17], v[8:9], s[14:15], v[16:17] op_sel_hi:[1,0,1] neg_lo:[1,0,1] neg_hi:[1,0,1]
	v_pk_fma_f32 v[28:29], v[36:37], s[4:5], v[28:29] op_sel_hi:[1,0,1] neg_lo:[1,0,1] neg_hi:[1,0,1]
	v_pk_add_f32 v[80:81], v[80:81], v[24:25]
	v_pk_fma_f32 v[62:63], v[46:47], s[0:1], v[62:63] op_sel_hi:[1,0,1]
	v_pk_add_f32 v[16:17], v[16:17], v[24:25]
	v_pk_fma_f32 v[28:29], v[46:47], s[0:1], v[28:29] op_sel_hi:[1,0,1]
	v_mov_b32_e32 v55, v79
	v_mov_b32_e32 v51, v65
	v_pk_add_f32 v[88:89], v[80:81], v[62:63]
	v_pk_add_f32 v[62:63], v[80:81], v[62:63] neg_lo:[0,1] neg_hi:[0,1]
	v_pk_add_f32 v[80:81], v[16:17], v[28:29]
	v_pk_add_f32 v[16:17], v[16:17], v[28:29] neg_lo:[0,1] neg_hi:[0,1]
	v_pk_fma_f32 v[8:9], v[8:9], s[14:15], v[54:55] op_sel_hi:[1,0,1] neg_lo:[0,0,1] neg_hi:[0,0,1]
	v_pk_fma_f32 v[28:29], v[36:37], s[4:5], v[50:51] op_sel_hi:[1,0,1] neg_lo:[0,0,1] neg_hi:[0,0,1]
	v_mul_f32_e32 v73, v35, v19
	v_pk_add_f32 v[8:9], v[8:9], v[24:25]
	v_pk_fma_f32 v[24:25], v[46:47], s[0:1], v[28:29] op_sel_hi:[1,0,1]
	v_fmac_f32_e32 v73, v34, v18
	v_pk_add_f32 v[28:29], v[8:9], v[24:25] neg_lo:[0,1] neg_hi:[0,1]
	v_pk_add_f32 v[8:9], v[8:9], v[24:25]
	v_mov_b32_e32 v25, v34
	v_mov_b32_e32 v34, v13
	;; [unrolled: 1-line block ×7, first 2 shown]
	v_pk_mul_f32 v[18:19], v[34:35], v[46:47]
	v_mul_f32_e32 v75, v21, v31
	v_pk_fma_f32 v[34:35], v[12:13], v[26:27], v[18:19]
	v_pk_fma_f32 v[18:19], v[24:25], v[36:37], v[18:19] neg_lo:[0,0,1] neg_hi:[0,0,1]
	v_mov_b32_e32 v24, v10
	v_mov_b32_e32 v12, v33
	v_mov_b32_e32 v10, v11
	v_mov_b32_e32 v11, v26
	v_mov_b32_e32 v25, v27
	v_pk_mul_f32 v[10:11], v[12:13], v[10:11]
	v_fmac_f32_e32 v75, v20, v30
	v_pk_fma_f32 v[12:13], v[114:115], v[24:25], v[10:11]
	v_pk_fma_f32 v[10:11], v[114:115], v[24:25], v[10:11] neg_lo:[0,0,1] neg_hi:[0,0,1]
	v_mov_b32_e32 v25, v20
	v_mov_b32_e32 v20, v15
	;; [unrolled: 1-line block ×4, first 2 shown]
	v_pk_mul_f32 v[20:21], v[20:21], v[32:33]
	v_mov_b32_e32 v24, v14
	v_mov_b32_e32 v26, v42
	;; [unrolled: 1-line block ×3, first 2 shown]
	v_pk_fma_f32 v[30:31], v[14:15], v[42:43], v[20:21]
	v_mov_b32_e32 v14, v23
	v_mov_b32_e32 v22, v39
	;; [unrolled: 1-line block ×3, first 2 shown]
	v_pk_fma_f32 v[20:21], v[24:25], v[26:27], v[20:21] neg_lo:[0,0,1] neg_hi:[0,0,1]
	v_mov_b32_e32 v24, v38
	v_mov_b32_e32 v25, v43
	v_pk_mul_f32 v[14:15], v[14:15], v[22:23]
	v_mov_b32_e32 v35, v19
	v_pk_fma_f32 v[22:23], v[104:105], v[24:25], v[14:15]
	v_pk_fma_f32 v[14:15], v[104:105], v[24:25], v[14:15] neg_lo:[0,0,1] neg_hi:[0,0,1]
	v_mov_b32_e32 v13, v11
	v_mov_b32_e32 v31, v21
	;; [unrolled: 1-line block ×3, first 2 shown]
	v_add_f32_e32 v4, v73, v75
	v_mov_b32_e32 v71, v12
	v_mov_b32_e32 v77, v22
	;; [unrolled: 1-line block ×4, first 2 shown]
	v_pk_add_f32 v[20:21], v[34:35], v[30:31]
	v_pk_add_f32 v[12:13], v[12:13], v[22:23]
	v_mov_b32_e32 v14, v15
	v_mov_b32_e32 v15, v30
	;; [unrolled: 1-line block ×4, first 2 shown]
	v_pk_add_f32 v[24:25], v[70:71], v[76:77] neg_lo:[0,1] neg_hi:[0,1]
	v_pk_add_f32 v[18:19], v[72:73], v[74:75] neg_lo:[0,1] neg_hi:[0,1]
	;; [unrolled: 1-line block ×3, first 2 shown]
	v_mov_b32_e32 v5, v21
	v_mov_b32_e32 v2, v12
	v_mov_b32_e32 v22, v20
	v_mov_b32_e32 v23, v3
	v_mov_b32_e32 v26, v4
	v_mov_b32_e32 v27, v13
	v_pk_add_f32 v[14:15], v[4:5], v[2:3]
	v_pk_add_f32 v[22:23], v[22:23], v[26:27] neg_lo:[0,1] neg_hi:[0,1]
	v_pk_add_f32 v[26:27], v[12:13], v[20:21] neg_lo:[0,1] neg_hi:[0,1]
	v_mov_b32_e32 v32, v10
	v_mov_b32_e32 v33, v25
	v_mov_b32_e32 v34, v18
	v_mov_b32_e32 v35, v11
	v_mov_b32_e32 v21, v13
	v_pk_add_f32 v[30:31], v[10:11], v[18:19]
	v_pk_add_f32 v[32:33], v[32:33], v[34:35] neg_lo:[0,1] neg_hi:[0,1]
	v_mov_b32_e32 v34, v24
	v_mov_b32_e32 v11, v19
	v_pk_add_f32 v[12:13], v[20:21], v[14:15]
	v_pk_add_f32 v[10:11], v[34:35], v[10:11] neg_lo:[0,1] neg_hi:[0,1]
	v_pk_add_f32 v[20:21], v[56:57], v[12:13]
	v_pk_mul_f32 v[22:23], v[22:23], s[18:19]
	v_pk_mul_f32 v[32:33], v[32:33], s[2:3]
	v_pk_add_f32 v[14:15], v[30:31], v[24:25]
	v_pk_mul_f32 v[30:31], v[26:27], s[20:21]
	v_pk_mul_f32 v[34:35], v[10:11], s[12:13]
	v_pk_fma_f32 v[12:13], v[12:13], s[16:17], v[20:21] op_sel_hi:[1,0,1] neg_lo:[1,0,0] neg_hi:[1,0,0]
	v_pk_fma_f32 v[26:27], v[26:27], s[20:21], v[22:23]
	v_pk_fma_f32 v[10:11], v[10:11], s[12:13], v[32:33]
	v_pk_add_f32 v[26:27], v[26:27], v[12:13]
	v_pk_fma_f32 v[10:11], v[14:15], s[0:1], v[10:11] op_sel_hi:[1,0,1]
	s_nop 0
	v_pk_add_f32 v[36:37], v[26:27], v[10:11] neg_lo:[0,1] neg_hi:[0,1]
	v_pk_add_f32 v[10:11], v[26:27], v[10:11]
	v_mov_b32_e32 v26, v88
	v_mov_b32_e32 v27, v63
	; wave barrier
	ds_write2_b64 v82, v[40:41], v[26:27] offset1:51
	v_mov_b32_e32 v27, v17
	v_mov_b32_e32 v39, v9
	;; [unrolled: 1-line block ×4, first 2 shown]
	ds_write2_b64 v82, v[8:9], v[16:17] offset0:204 offset1:255
	v_pk_add_f32 v[2:3], v[4:5], v[2:3] neg_lo:[0,1] neg_hi:[0,1]
	v_pk_add_f32 v[4:5], v[18:19], v[24:25] neg_lo:[0,1] neg_hi:[0,1]
	v_mov_b32_e32 v16, v30
	v_mov_b32_e32 v17, v23
	;; [unrolled: 1-line block ×4, first 2 shown]
	v_pk_fma_f32 v[16:17], v[2:3], s[14:15], v[16:17] op_sel_hi:[1,0,1] neg_lo:[1,0,1] neg_hi:[1,0,1]
	v_pk_fma_f32 v[18:19], v[4:5], s[4:5], v[18:19] op_sel_hi:[1,0,1] neg_lo:[1,0,1] neg_hi:[1,0,1]
	v_mov_b32_e32 v63, v89
	v_pk_add_f32 v[16:17], v[16:17], v[12:13]
	v_pk_fma_f32 v[18:19], v[14:15], s[0:1], v[18:19] op_sel_hi:[1,0,1]
	v_mov_b32_e32 v23, v31
	v_mov_b32_e32 v33, v35
	ds_write2_b64 v7, v[62:63], v[20:21] offset0:50 offset1:101
	v_pk_add_f32 v[20:21], v[16:17], v[18:19] neg_lo:[0,1] neg_hi:[0,1]
	v_pk_add_f32 v[16:17], v[16:17], v[18:19]
	v_pk_fma_f32 v[2:3], v[2:3], s[14:15], v[22:23] op_sel_hi:[1,0,1] neg_lo:[0,0,1] neg_hi:[0,0,1]
	v_pk_fma_f32 v[4:5], v[4:5], s[4:5], v[32:33] op_sel_hi:[1,0,1] neg_lo:[0,0,1] neg_hi:[0,0,1]
	v_mov_b32_e32 v8, v10
	v_mov_b32_e32 v9, v37
	;; [unrolled: 1-line block ×4, first 2 shown]
	v_pk_add_f32 v[2:3], v[2:3], v[12:13]
	v_pk_fma_f32 v[4:5], v[14:15], s[0:1], v[4:5] op_sel_hi:[1,0,1]
	ds_write2_b64 v7, v[8:9], v[18:19] offset0:152 offset1:203
	v_pk_add_f32 v[8:9], v[2:3], v[4:5]
	v_pk_add_f32 v[2:3], v[2:3], v[4:5] neg_lo:[0,1] neg_hi:[0,1]
	v_mov_b32_e32 v26, v80
	v_mov_b32_e32 v38, v28
	;; [unrolled: 1-line block ×7, first 2 shown]
	ds_write2_b64 v82, v[26:27], v[38:39] offset0:102 offset1:153
	ds_write2_b64 v83, v[4:5], v[8:9] offset0:126 offset1:177
	;; [unrolled: 1-line block ×3, first 2 shown]
	s_waitcnt lgkmcnt(0)
	; wave barrier
	s_waitcnt lgkmcnt(0)
	ds_read2_b64 v[2:5], v7 offset0:50 offset1:101
	ds_read2_b64 v[8:11], v82 offset1:51
	ds_read2_b64 v[12:15], v7 offset0:152 offset1:203
	v_mad_u64_u32 v[20:21], s[0:1], s10, v96, 0
	s_waitcnt lgkmcnt(2)
	v_pk_mul_f32 v[16:17], v[130:131], v[4:5]
	v_mov_b32_e32 v22, v21
	v_pk_fma_f32 v[18:19], v[68:69], v[4:5], v[16:17] op_sel:[0,0,1] op_sel_hi:[1,1,0]
	v_pk_fma_f32 v[4:5], v[68:69], v[4:5], v[16:17] op_sel:[0,0,1] op_sel_hi:[1,1,0] neg_lo:[0,0,1] neg_hi:[0,0,1]
	s_mul_hi_u32 s5, s8, 0xfffffe57
	v_mov_b32_e32 v19, v5
	s_waitcnt lgkmcnt(1)
	v_pk_add_f32 v[4:5], v[8:9], v[18:19] neg_lo:[0,1] neg_hi:[0,1]
	s_mul_i32 s4, s9, 0xfffffe57
	v_pk_fma_f32 v[24:25], v[8:9], 2.0, v[4:5] op_sel_hi:[1,0,1] neg_lo:[0,0,1] neg_hi:[0,0,1]
	s_waitcnt lgkmcnt(0)
	v_pk_mul_f32 v[8:9], v[128:129], v[12:13]
	s_sub_i32 s5, s5, s8
	v_pk_fma_f32 v[16:17], v[66:67], v[12:13], v[8:9] op_sel:[0,0,1] op_sel_hi:[1,1,0]
	v_pk_fma_f32 v[8:9], v[66:67], v[12:13], v[8:9] op_sel:[0,0,1] op_sel_hi:[1,1,0] neg_lo:[0,0,1] neg_hi:[0,0,1]
	v_pk_mul_f32 v[12:13], v[126:127], v[14:15]
	v_mov_b32_e32 v17, v9
	v_pk_add_f32 v[26:27], v[10:11], v[16:17] neg_lo:[0,1] neg_hi:[0,1]
	ds_read2_b64 v[16:19], v83 offset0:126 offset1:177
	v_pk_fma_f32 v[28:29], v[10:11], 2.0, v[26:27] op_sel_hi:[1,0,1] neg_lo:[0,0,1] neg_hi:[0,0,1]
	ds_read2_b64 v[8:11], v82 offset0:102 offset1:153
	v_pk_fma_f32 v[30:31], v[60:61], v[14:15], v[12:13] op_sel:[0,0,1] op_sel_hi:[1,1,0]
	v_pk_fma_f32 v[12:13], v[60:61], v[14:15], v[12:13] op_sel:[0,0,1] op_sel_hi:[1,1,0] neg_lo:[0,0,1] neg_hi:[0,0,1]
	s_waitcnt lgkmcnt(1)
	v_pk_mul_f32 v[36:37], v[120:121], v[18:19]
	v_mov_b32_e32 v31, v13
	s_waitcnt lgkmcnt(0)
	v_pk_add_f32 v[30:31], v[8:9], v[30:31] neg_lo:[0,1] neg_hi:[0,1]
	v_pk_fma_f32 v[38:39], v[52:53], v[18:19], v[36:37] op_sel:[0,0,1] op_sel_hi:[1,1,0]
	v_pk_fma_f32 v[32:33], v[8:9], 2.0, v[30:31] op_sel_hi:[1,0,1] neg_lo:[0,0,1] neg_hi:[0,0,1]
	v_pk_mul_f32 v[8:9], v[124:125], v[16:17]
	v_pk_fma_f32 v[18:19], v[52:53], v[18:19], v[36:37] op_sel:[0,0,1] op_sel_hi:[1,1,0] neg_lo:[0,0,1] neg_hi:[0,0,1]
	v_pk_fma_f32 v[12:13], v[58:59], v[16:17], v[8:9] op_sel:[0,0,1] op_sel_hi:[1,1,0]
	v_pk_fma_f32 v[8:9], v[58:59], v[16:17], v[8:9] op_sel:[0,0,1] op_sel_hi:[1,1,0] neg_lo:[0,0,1] neg_hi:[0,0,1]
	v_mov_b32_e32 v39, v19
	v_mov_b32_e32 v13, v9
	v_pk_add_f32 v[16:17], v[10:11], v[12:13] neg_lo:[0,1] neg_hi:[0,1]
	ds_read2_b64 v[12:15], v6 offset0:100 offset1:151
	v_pk_fma_f32 v[34:35], v[10:11], 2.0, v[16:17] op_sel_hi:[1,0,1] neg_lo:[0,0,1] neg_hi:[0,0,1]
	ds_read2_b64 v[8:11], v82 offset0:204 offset1:255
	ds_write_b64 v82, v[26:27] offset:3264
	ds_write2_b64 v82, v[24:25], v[28:29] offset1:51
	ds_write_b64 v82, v[30:31] offset:3672
	ds_write2_b64 v82, v[32:33], v[34:35] offset0:102 offset1:153
	s_add_i32 s5, s5, s4
	s_waitcnt lgkmcnt(5)
	v_pk_mul_f32 v[24:25], v[116:117], v[14:15]
	v_pk_mul_f32 v[36:37], v[118:119], v[12:13]
	v_pk_fma_f32 v[26:27], v[44:45], v[14:15], v[24:25] op_sel:[0,0,1] op_sel_hi:[1,1,0]
	v_pk_fma_f32 v[14:15], v[44:45], v[14:15], v[24:25] op_sel:[0,0,1] op_sel_hi:[1,1,0] neg_lo:[0,0,1] neg_hi:[0,0,1]
	s_waitcnt lgkmcnt(4)
	v_pk_add_f32 v[18:19], v[8:9], v[38:39] neg_lo:[0,1] neg_hi:[0,1]
	v_pk_fma_f32 v[38:39], v[48:49], v[12:13], v[36:37] op_sel:[0,0,1] op_sel_hi:[1,1,0]
	v_pk_fma_f32 v[12:13], v[48:49], v[12:13], v[36:37] op_sel:[0,0,1] op_sel_hi:[1,1,0] neg_lo:[0,0,1] neg_hi:[0,0,1]
	v_mov_b32_e32 v27, v15
	v_mov_b32_e32 v39, v13
	v_pk_add_f32 v[14:15], v[2:3], v[26:27] neg_lo:[0,1] neg_hi:[0,1]
	v_pk_add_f32 v[12:13], v[10:11], v[38:39] neg_lo:[0,1] neg_hi:[0,1]
	v_pk_fma_f32 v[2:3], v[2:3], 2.0, v[14:15] op_sel_hi:[1,0,1] neg_lo:[0,0,1] neg_hi:[0,0,1]
	v_pk_fma_f32 v[8:9], v[8:9], 2.0, v[18:19] op_sel_hi:[1,0,1] neg_lo:[0,0,1] neg_hi:[0,0,1]
	;; [unrolled: 1-line block ×3, first 2 shown]
	ds_write_b64 v82, v[4:5] offset:2856
	ds_write2_b64 v83, v[16:17], v[18:19] offset0:126 offset1:177
	ds_write2_b64 v82, v[8:9], v[10:11] offset0:204 offset1:255
	ds_write_b64 v82, v[2:3] offset:2448
	ds_write2_b64 v6, v[12:13], v[14:15] offset0:100 offset1:151
	s_waitcnt lgkmcnt(0)
	; wave barrier
	s_waitcnt lgkmcnt(0)
	ds_read2_b64 v[2:5], v82 offset1:51
	v_mad_u64_u32 v[8:9], s[0:1], s11, v96, v[22:23]
	v_mov_b32_e32 v21, v8
	s_mov_b32 s0, 0x16f26017
	s_waitcnt lgkmcnt(0)
	v_mul_f32_e32 v8, v249, v3
	v_fmac_f32_e32 v8, v248, v2
	v_mul_f32_e32 v2, v249, v2
	v_fma_f32 v2, v248, v3, -v2
	s_mov_b32 s1, 0x3f56f260
	v_cvt_f64_f32_e32 v[2:3], v2
	v_cvt_f64_f32_e32 v[8:9], v8
	v_mul_f64 v[2:3], v[2:3], s[0:1]
	v_mul_f64 v[8:9], v[8:9], s[0:1]
	v_cvt_f32_f64_e32 v13, v[2:3]
	v_mad_u64_u32 v[2:3], s[2:3], s8, v106, 0
	v_cvt_f32_f64_e32 v12, v[8:9]
	v_mov_b32_e32 v8, v3
	v_add_u32_e32 v3, 0x400, v82
	v_mad_u64_u32 v[14:15], s[2:3], s9, v106, v[8:9]
	ds_read2_b64 v[8:11], v3 offset0:110 offset1:161
	v_mov_b32_e32 v3, v14
	v_lshl_add_u64 v[0:1], v[20:21], 3, v[0:1]
	v_lshl_add_u64 v[14:15], v[2:3], 3, v[0:1]
	global_store_dwordx2 v[14:15], v[12:13], off
	s_waitcnt lgkmcnt(0)
	v_mul_f32_e32 v0, v247, v9
	v_fmac_f32_e32 v0, v246, v8
	v_cvt_f64_f32_e32 v[0:1], v0
	v_mul_f64 v[0:1], v[0:1], s[0:1]
	v_cvt_f32_f64_e32 v12, v[0:1]
	v_mul_f32_e32 v0, v247, v8
	v_fma_f32 v0, v246, v9, -v0
	v_cvt_f64_f32_e32 v[0:1], v0
	v_mul_f64 v[0:1], v[0:1], s[0:1]
	v_cvt_f32_f64_e32 v13, v[0:1]
	ds_read2_b64 v[0:3], v83 offset0:92 offset1:143
	s_mul_i32 s2, s9, 0xee
	s_mul_hi_u32 s3, s8, 0xee
	s_add_i32 s3, s3, s2
	s_mul_i32 s2, s8, 0xee
	s_lshl_b64 s[2:3], s[2:3], 3
	v_lshl_add_u64 v[8:9], v[14:15], 0, s[2:3]
	global_store_dwordx2 v[8:9], v[12:13], off
	s_waitcnt lgkmcnt(0)
	v_mul_f32_e32 v12, v235, v1
	v_fmac_f32_e32 v12, v234, v0
	v_mul_f32_e32 v0, v235, v0
	v_fma_f32 v0, v234, v1, -v0
	v_cvt_f64_f32_e32 v[12:13], v12
	v_cvt_f64_f32_e32 v[0:1], v0
	v_mul_f64 v[12:13], v[12:13], s[0:1]
	v_mul_f64 v[0:1], v[0:1], s[0:1]
	v_cvt_f32_f64_e32 v12, v[12:13]
	v_cvt_f32_f64_e32 v13, v[0:1]
	v_lshl_add_u64 v[0:1], v[8:9], 0, s[2:3]
	v_mul_f32_e32 v8, v245, v5
	v_fmac_f32_e32 v8, v244, v4
	v_mul_f32_e32 v4, v245, v4
	v_fma_f32 v4, v244, v5, -v4
	v_cvt_f64_f32_e32 v[8:9], v8
	v_cvt_f64_f32_e32 v[4:5], v4
	v_mul_f64 v[8:9], v[8:9], s[0:1]
	v_mul_f64 v[4:5], v[4:5], s[0:1]
	v_cvt_f32_f64_e32 v8, v[8:9]
	v_cvt_f32_f64_e32 v9, v[4:5]
	v_mul_f32_e32 v4, v111, v11
	v_fmac_f32_e32 v4, v110, v10
	v_cvt_f64_f32_e32 v[4:5], v4
	s_mul_i32 s4, s8, 0xfffffe57
	v_mul_f64 v[4:5], v[4:5], s[0:1]
	s_lshl_b64 s[8:9], s[4:5], 3
	v_cvt_f32_f64_e32 v4, v[4:5]
	v_mul_f32_e32 v5, v111, v10
	global_store_dwordx2 v[0:1], v[12:13], off
	v_lshl_add_u64 v[0:1], v[0:1], 0, s[8:9]
	v_fma_f32 v5, v110, v11, -v5
	global_store_dwordx2 v[0:1], v[8:9], off
	v_cvt_f64_f32_e32 v[8:9], v5
	v_mul_f64 v[8:9], v[8:9], s[0:1]
	v_cvt_f32_f64_e32 v5, v[8:9]
	v_lshl_add_u64 v[8:9], v[0:1], 0, s[2:3]
	v_mul_f32_e32 v0, v113, v3
	v_fmac_f32_e32 v0, v112, v2
	v_cvt_f64_f32_e32 v[0:1], v0
	v_mul_f64 v[0:1], v[0:1], s[0:1]
	global_store_dwordx2 v[8:9], v[4:5], off
	v_cvt_f32_f64_e32 v4, v[0:1]
	v_mul_f32_e32 v0, v113, v2
	v_fma_f32 v0, v112, v3, -v0
	v_cvt_f64_f32_e32 v[10:11], v0
	ds_read2_b64 v[0:3], v82 offset0:102 offset1:153
	v_mul_f64 v[10:11], v[10:11], s[0:1]
	v_cvt_f32_f64_e32 v5, v[10:11]
	v_lshl_add_u64 v[12:13], v[8:9], 0, s[2:3]
	global_store_dwordx2 v[12:13], v[4:5], off
	s_waitcnt lgkmcnt(0)
	v_mul_f32_e32 v4, v109, v1
	v_fmac_f32_e32 v4, v108, v0
	v_mul_f32_e32 v0, v109, v0
	ds_read2_b64 v[8:11], v7 offset0:84 offset1:135
	v_fma_f32 v0, v108, v1, -v0
	v_cvt_f64_f32_e32 v[4:5], v4
	v_cvt_f64_f32_e32 v[0:1], v0
	v_mul_f64 v[4:5], v[4:5], s[0:1]
	v_mul_f64 v[0:1], v[0:1], s[0:1]
	v_cvt_f32_f64_e32 v4, v[4:5]
	v_cvt_f32_f64_e32 v5, v[0:1]
	v_lshl_add_u64 v[0:1], v[12:13], 0, s[8:9]
	global_store_dwordx2 v[0:1], v[4:5], off
	s_waitcnt lgkmcnt(0)
	v_mul_f32_e32 v4, v103, v9
	v_fmac_f32_e32 v4, v102, v8
	v_cvt_f64_f32_e32 v[4:5], v4
	v_mul_f64 v[4:5], v[4:5], s[0:1]
	v_cvt_f32_f64_e32 v12, v[4:5]
	v_mul_f32_e32 v4, v103, v8
	v_fma_f32 v4, v102, v9, -v4
	v_cvt_f64_f32_e32 v[8:9], v4
	ds_read2_b64 v[4:7], v6 offset0:66 offset1:117
	v_mul_f64 v[8:9], v[8:9], s[0:1]
	v_cvt_f32_f64_e32 v13, v[8:9]
	v_lshl_add_u64 v[0:1], v[0:1], 0, s[2:3]
	global_store_dwordx2 v[0:1], v[12:13], off
	s_waitcnt lgkmcnt(0)
	v_mul_f32_e32 v8, v101, v5
	v_fmac_f32_e32 v8, v100, v4
	v_mul_f32_e32 v4, v101, v4
	v_fma_f32 v4, v100, v5, -v4
	v_cvt_f64_f32_e32 v[8:9], v8
	v_cvt_f64_f32_e32 v[4:5], v4
	v_mul_f64 v[8:9], v[8:9], s[0:1]
	v_mul_f64 v[4:5], v[4:5], s[0:1]
	v_cvt_f32_f64_e32 v8, v[8:9]
	v_cvt_f32_f64_e32 v9, v[4:5]
	v_mul_f32_e32 v4, v99, v3
	v_fmac_f32_e32 v4, v98, v2
	v_mul_f32_e32 v2, v99, v2
	v_fma_f32 v2, v98, v3, -v2
	v_cvt_f64_f32_e32 v[4:5], v4
	v_cvt_f64_f32_e32 v[2:3], v2
	v_mul_f64 v[4:5], v[4:5], s[0:1]
	v_mul_f64 v[2:3], v[2:3], s[0:1]
	v_cvt_f32_f64_e32 v4, v[4:5]
	v_cvt_f32_f64_e32 v5, v[2:3]
	v_mul_f32_e32 v2, v95, v11
	v_fmac_f32_e32 v2, v94, v10
	v_cvt_f64_f32_e32 v[2:3], v2
	v_mul_f64 v[2:3], v[2:3], s[0:1]
	v_lshl_add_u64 v[0:1], v[0:1], 0, s[2:3]
	v_cvt_f32_f64_e32 v2, v[2:3]
	v_mul_f32_e32 v3, v95, v10
	global_store_dwordx2 v[0:1], v[8:9], off
	v_lshl_add_u64 v[0:1], v[0:1], 0, s[8:9]
	v_fma_f32 v3, v94, v11, -v3
	global_store_dwordx2 v[0:1], v[4:5], off
	v_cvt_f64_f32_e32 v[4:5], v3
	v_mul_f64 v[4:5], v[4:5], s[0:1]
	v_cvt_f32_f64_e32 v3, v[4:5]
	v_lshl_add_u64 v[0:1], v[0:1], 0, s[2:3]
	global_store_dwordx2 v[0:1], v[2:3], off
	v_mul_f32_e32 v2, v93, v7
	v_fmac_f32_e32 v2, v92, v6
	v_cvt_f64_f32_e32 v[2:3], v2
	v_mul_f64 v[2:3], v[2:3], s[0:1]
	v_cvt_f32_f64_e32 v2, v[2:3]
	v_mul_f32_e32 v3, v93, v6
	v_fma_f32 v3, v92, v7, -v3
	v_cvt_f64_f32_e32 v[4:5], v3
	v_mul_f64 v[4:5], v[4:5], s[0:1]
	s_movk_i32 s10, 0x1000
	v_cvt_f32_f64_e32 v3, v[4:5]
	v_lshl_add_u64 v[0:1], v[0:1], 0, s[2:3]
	global_store_dwordx2 v[0:1], v[2:3], off
	s_and_b64 exec, exec, s[6:7]
	s_cbranch_execz .LBB0_23
; %bb.22:
	global_load_dwordx2 v[6:7], v[90:91], off offset:1632
	v_add_u32_e32 v2, 0x600, v82
	ds_read2_b64 v[2:5], v2 offset0:12 offset1:250
	v_lshl_add_u64 v[0:1], s[4:5], 3, v[0:1]
	s_waitcnt vmcnt(0) lgkmcnt(0)
	v_mul_f32_e32 v8, v3, v7
	v_mul_f32_e32 v7, v2, v7
	v_fmac_f32_e32 v8, v2, v6
	v_fma_f32 v6, v6, v3, -v7
	v_cvt_f64_f32_e32 v[2:3], v8
	v_cvt_f64_f32_e32 v[6:7], v6
	v_mul_f64 v[2:3], v[2:3], s[0:1]
	v_mul_f64 v[6:7], v[6:7], s[0:1]
	v_cvt_f32_f64_e32 v2, v[2:3]
	v_cvt_f32_f64_e32 v3, v[6:7]
	global_store_dwordx2 v[0:1], v[2:3], off
	global_load_dwordx2 v[2:3], v[90:91], off offset:3536
	v_add_co_u32_e32 v6, vcc, s10, v90
	v_lshl_add_u64 v[0:1], v[0:1], 0, s[2:3]
	s_nop 0
	v_addc_co_u32_e32 v7, vcc, 0, v91, vcc
	s_waitcnt vmcnt(0)
	v_mul_f32_e32 v8, v5, v3
	v_mul_f32_e32 v3, v4, v3
	v_fmac_f32_e32 v8, v4, v2
	v_fma_f32 v4, v2, v5, -v3
	v_cvt_f64_f32_e32 v[2:3], v8
	v_cvt_f64_f32_e32 v[4:5], v4
	v_mul_f64 v[2:3], v[2:3], s[0:1]
	v_mul_f64 v[4:5], v[4:5], s[0:1]
	v_cvt_f32_f64_e32 v2, v[2:3]
	v_cvt_f32_f64_e32 v3, v[4:5]
	global_store_dwordx2 v[0:1], v[2:3], off
	global_load_dwordx2 v[2:3], v[6:7], off offset:1344
	ds_read_b64 v[4:5], v82 offset:5440
	v_lshl_add_u64 v[0:1], v[0:1], 0, s[2:3]
	s_waitcnt vmcnt(0) lgkmcnt(0)
	v_mul_f32_e32 v6, v5, v3
	v_mul_f32_e32 v3, v4, v3
	v_fmac_f32_e32 v6, v4, v2
	v_fma_f32 v4, v2, v5, -v3
	v_cvt_f64_f32_e32 v[2:3], v6
	v_cvt_f64_f32_e32 v[4:5], v4
	v_mul_f64 v[2:3], v[2:3], s[0:1]
	v_mul_f64 v[4:5], v[4:5], s[0:1]
	v_cvt_f32_f64_e32 v2, v[2:3]
	v_cvt_f32_f64_e32 v3, v[4:5]
	global_store_dwordx2 v[0:1], v[2:3], off
.LBB0_23:
	s_endpgm
	.section	.rodata,"a",@progbits
	.p2align	6, 0x0
	.amdhsa_kernel bluestein_single_fwd_len714_dim1_sp_op_CI_CI
		.amdhsa_group_segment_fixed_size 5712
		.amdhsa_private_segment_fixed_size 0
		.amdhsa_kernarg_size 104
		.amdhsa_user_sgpr_count 2
		.amdhsa_user_sgpr_dispatch_ptr 0
		.amdhsa_user_sgpr_queue_ptr 0
		.amdhsa_user_sgpr_kernarg_segment_ptr 1
		.amdhsa_user_sgpr_dispatch_id 0
		.amdhsa_user_sgpr_kernarg_preload_length 0
		.amdhsa_user_sgpr_kernarg_preload_offset 0
		.amdhsa_user_sgpr_private_segment_size 0
		.amdhsa_uses_dynamic_stack 0
		.amdhsa_enable_private_segment 0
		.amdhsa_system_sgpr_workgroup_id_x 1
		.amdhsa_system_sgpr_workgroup_id_y 0
		.amdhsa_system_sgpr_workgroup_id_z 0
		.amdhsa_system_sgpr_workgroup_info 0
		.amdhsa_system_vgpr_workitem_id 0
		.amdhsa_next_free_vgpr 298
		.amdhsa_next_free_sgpr 64
		.amdhsa_accum_offset 256
		.amdhsa_reserve_vcc 1
		.amdhsa_float_round_mode_32 0
		.amdhsa_float_round_mode_16_64 0
		.amdhsa_float_denorm_mode_32 3
		.amdhsa_float_denorm_mode_16_64 3
		.amdhsa_dx10_clamp 1
		.amdhsa_ieee_mode 1
		.amdhsa_fp16_overflow 0
		.amdhsa_tg_split 0
		.amdhsa_exception_fp_ieee_invalid_op 0
		.amdhsa_exception_fp_denorm_src 0
		.amdhsa_exception_fp_ieee_div_zero 0
		.amdhsa_exception_fp_ieee_overflow 0
		.amdhsa_exception_fp_ieee_underflow 0
		.amdhsa_exception_fp_ieee_inexact 0
		.amdhsa_exception_int_div_zero 0
	.end_amdhsa_kernel
	.text
.Lfunc_end0:
	.size	bluestein_single_fwd_len714_dim1_sp_op_CI_CI, .Lfunc_end0-bluestein_single_fwd_len714_dim1_sp_op_CI_CI
                                        ; -- End function
	.section	.AMDGPU.csdata,"",@progbits
; Kernel info:
; codeLenInByte = 18832
; NumSgprs: 70
; NumVgprs: 256
; NumAgprs: 42
; TotalNumVgprs: 298
; ScratchSize: 0
; MemoryBound: 0
; FloatMode: 240
; IeeeMode: 1
; LDSByteSize: 5712 bytes/workgroup (compile time only)
; SGPRBlocks: 8
; VGPRBlocks: 37
; NumSGPRsForWavesPerEU: 70
; NumVGPRsForWavesPerEU: 298
; AccumOffset: 256
; Occupancy: 1
; WaveLimiterHint : 1
; COMPUTE_PGM_RSRC2:SCRATCH_EN: 0
; COMPUTE_PGM_RSRC2:USER_SGPR: 2
; COMPUTE_PGM_RSRC2:TRAP_HANDLER: 0
; COMPUTE_PGM_RSRC2:TGID_X_EN: 1
; COMPUTE_PGM_RSRC2:TGID_Y_EN: 0
; COMPUTE_PGM_RSRC2:TGID_Z_EN: 0
; COMPUTE_PGM_RSRC2:TIDIG_COMP_CNT: 0
; COMPUTE_PGM_RSRC3_GFX90A:ACCUM_OFFSET: 63
; COMPUTE_PGM_RSRC3_GFX90A:TG_SPLIT: 0
	.text
	.p2alignl 6, 3212836864
	.fill 256, 4, 3212836864
	.type	__hip_cuid_a09b86fd66a0e5b3,@object ; @__hip_cuid_a09b86fd66a0e5b3
	.section	.bss,"aw",@nobits
	.globl	__hip_cuid_a09b86fd66a0e5b3
__hip_cuid_a09b86fd66a0e5b3:
	.byte	0                               ; 0x0
	.size	__hip_cuid_a09b86fd66a0e5b3, 1

	.ident	"AMD clang version 19.0.0git (https://github.com/RadeonOpenCompute/llvm-project roc-6.4.0 25133 c7fe45cf4b819c5991fe208aaa96edf142730f1d)"
	.section	".note.GNU-stack","",@progbits
	.addrsig
	.addrsig_sym __hip_cuid_a09b86fd66a0e5b3
	.amdgpu_metadata
---
amdhsa.kernels:
  - .agpr_count:     42
    .args:
      - .actual_access:  read_only
        .address_space:  global
        .offset:         0
        .size:           8
        .value_kind:     global_buffer
      - .actual_access:  read_only
        .address_space:  global
        .offset:         8
        .size:           8
        .value_kind:     global_buffer
      - .actual_access:  read_only
        .address_space:  global
        .offset:         16
        .size:           8
        .value_kind:     global_buffer
      - .actual_access:  read_only
        .address_space:  global
        .offset:         24
        .size:           8
        .value_kind:     global_buffer
      - .actual_access:  read_only
        .address_space:  global
        .offset:         32
        .size:           8
        .value_kind:     global_buffer
      - .offset:         40
        .size:           8
        .value_kind:     by_value
      - .address_space:  global
        .offset:         48
        .size:           8
        .value_kind:     global_buffer
      - .address_space:  global
        .offset:         56
        .size:           8
        .value_kind:     global_buffer
      - .address_space:  global
        .offset:         64
        .size:           8
        .value_kind:     global_buffer
      - .address_space:  global
        .offset:         72
        .size:           8
        .value_kind:     global_buffer
      - .offset:         80
        .size:           4
        .value_kind:     by_value
      - .address_space:  global
        .offset:         88
        .size:           8
        .value_kind:     global_buffer
      - .address_space:  global
        .offset:         96
        .size:           8
        .value_kind:     global_buffer
    .group_segment_fixed_size: 5712
    .kernarg_segment_align: 8
    .kernarg_segment_size: 104
    .language:       OpenCL C
    .language_version:
      - 2
      - 0
    .max_flat_workgroup_size: 51
    .name:           bluestein_single_fwd_len714_dim1_sp_op_CI_CI
    .private_segment_fixed_size: 0
    .sgpr_count:     70
    .sgpr_spill_count: 0
    .symbol:         bluestein_single_fwd_len714_dim1_sp_op_CI_CI.kd
    .uniform_work_group_size: 1
    .uses_dynamic_stack: false
    .vgpr_count:     298
    .vgpr_spill_count: 0
    .wavefront_size: 64
amdhsa.target:   amdgcn-amd-amdhsa--gfx950
amdhsa.version:
  - 1
  - 2
...

	.end_amdgpu_metadata
